;; amdgpu-corpus repo=ROCm/rocFFT kind=compiled arch=gfx1201 opt=O3
	.text
	.amdgcn_target "amdgcn-amd-amdhsa--gfx1201"
	.amdhsa_code_object_version 6
	.protected	fft_rtc_fwd_len3000_factors_10_3_10_10_wgs_100_tpt_100_halfLds_half_ip_CI_unitstride_sbrr_dirReg ; -- Begin function fft_rtc_fwd_len3000_factors_10_3_10_10_wgs_100_tpt_100_halfLds_half_ip_CI_unitstride_sbrr_dirReg
	.globl	fft_rtc_fwd_len3000_factors_10_3_10_10_wgs_100_tpt_100_halfLds_half_ip_CI_unitstride_sbrr_dirReg
	.p2align	8
	.type	fft_rtc_fwd_len3000_factors_10_3_10_10_wgs_100_tpt_100_halfLds_half_ip_CI_unitstride_sbrr_dirReg,@function
fft_rtc_fwd_len3000_factors_10_3_10_10_wgs_100_tpt_100_halfLds_half_ip_CI_unitstride_sbrr_dirReg: ; @fft_rtc_fwd_len3000_factors_10_3_10_10_wgs_100_tpt_100_halfLds_half_ip_CI_unitstride_sbrr_dirReg
; %bb.0:
	s_clause 0x2
	s_load_b128 s[4:7], s[0:1], 0x0
	s_load_b64 s[8:9], s[0:1], 0x50
	s_load_b64 s[10:11], s[0:1], 0x18
	v_mul_u32_u24_e32 v1, 0x290, v0
	v_mov_b32_e32 v3, 0
	s_delay_alu instid0(VALU_DEP_2) | instskip(NEXT) | instid1(VALU_DEP_1)
	v_lshrrev_b32_e32 v1, 16, v1
	v_add_nc_u32_e32 v5, ttmp9, v1
	v_mov_b32_e32 v1, 0
	v_mov_b32_e32 v2, 0
	;; [unrolled: 1-line block ×3, first 2 shown]
	s_wait_kmcnt 0x0
	v_cmp_lt_u64_e64 s2, s[6:7], 2
	s_delay_alu instid0(VALU_DEP_1)
	s_and_b32 vcc_lo, exec_lo, s2
	s_cbranch_vccnz .LBB0_8
; %bb.1:
	s_load_b64 s[2:3], s[0:1], 0x10
	v_mov_b32_e32 v1, 0
	v_mov_b32_e32 v2, 0
	s_add_nc_u64 s[12:13], s[10:11], 8
	s_mov_b64 s[14:15], 1
	s_wait_kmcnt 0x0
	s_add_nc_u64 s[16:17], s[2:3], 8
	s_mov_b32 s3, 0
.LBB0_2:                                ; =>This Inner Loop Header: Depth=1
	s_load_b64 s[18:19], s[16:17], 0x0
                                        ; implicit-def: $vgpr7_vgpr8
	s_mov_b32 s2, exec_lo
	s_wait_kmcnt 0x0
	v_or_b32_e32 v4, s19, v6
	s_delay_alu instid0(VALU_DEP_1)
	v_cmpx_ne_u64_e32 0, v[3:4]
	s_wait_alu 0xfffe
	s_xor_b32 s20, exec_lo, s2
	s_cbranch_execz .LBB0_4
; %bb.3:                                ;   in Loop: Header=BB0_2 Depth=1
	s_cvt_f32_u32 s2, s18
	s_cvt_f32_u32 s21, s19
	s_sub_nc_u64 s[24:25], 0, s[18:19]
	s_wait_alu 0xfffe
	s_delay_alu instid0(SALU_CYCLE_1) | instskip(SKIP_1) | instid1(SALU_CYCLE_2)
	s_fmamk_f32 s2, s21, 0x4f800000, s2
	s_wait_alu 0xfffe
	v_s_rcp_f32 s2, s2
	s_delay_alu instid0(TRANS32_DEP_1) | instskip(SKIP_1) | instid1(SALU_CYCLE_2)
	s_mul_f32 s2, s2, 0x5f7ffffc
	s_wait_alu 0xfffe
	s_mul_f32 s21, s2, 0x2f800000
	s_wait_alu 0xfffe
	s_delay_alu instid0(SALU_CYCLE_2) | instskip(SKIP_1) | instid1(SALU_CYCLE_2)
	s_trunc_f32 s21, s21
	s_wait_alu 0xfffe
	s_fmamk_f32 s2, s21, 0xcf800000, s2
	s_cvt_u32_f32 s23, s21
	s_wait_alu 0xfffe
	s_delay_alu instid0(SALU_CYCLE_1) | instskip(SKIP_1) | instid1(SALU_CYCLE_2)
	s_cvt_u32_f32 s22, s2
	s_wait_alu 0xfffe
	s_mul_u64 s[26:27], s[24:25], s[22:23]
	s_wait_alu 0xfffe
	s_mul_hi_u32 s29, s22, s27
	s_mul_i32 s28, s22, s27
	s_mul_hi_u32 s2, s22, s26
	s_mul_i32 s30, s23, s26
	s_wait_alu 0xfffe
	s_add_nc_u64 s[28:29], s[2:3], s[28:29]
	s_mul_hi_u32 s21, s23, s26
	s_mul_hi_u32 s31, s23, s27
	s_add_co_u32 s2, s28, s30
	s_wait_alu 0xfffe
	s_add_co_ci_u32 s2, s29, s21
	s_mul_i32 s26, s23, s27
	s_add_co_ci_u32 s27, s31, 0
	s_wait_alu 0xfffe
	s_add_nc_u64 s[26:27], s[2:3], s[26:27]
	s_wait_alu 0xfffe
	v_add_co_u32 v4, s2, s22, s26
	s_delay_alu instid0(VALU_DEP_1) | instskip(SKIP_1) | instid1(VALU_DEP_1)
	s_cmp_lg_u32 s2, 0
	s_add_co_ci_u32 s23, s23, s27
	v_readfirstlane_b32 s22, v4
	s_wait_alu 0xfffe
	s_delay_alu instid0(VALU_DEP_1)
	s_mul_u64 s[24:25], s[24:25], s[22:23]
	s_wait_alu 0xfffe
	s_mul_hi_u32 s27, s22, s25
	s_mul_i32 s26, s22, s25
	s_mul_hi_u32 s2, s22, s24
	s_mul_i32 s28, s23, s24
	s_wait_alu 0xfffe
	s_add_nc_u64 s[26:27], s[2:3], s[26:27]
	s_mul_hi_u32 s21, s23, s24
	s_mul_hi_u32 s22, s23, s25
	s_wait_alu 0xfffe
	s_add_co_u32 s2, s26, s28
	s_add_co_ci_u32 s2, s27, s21
	s_mul_i32 s24, s23, s25
	s_add_co_ci_u32 s25, s22, 0
	s_wait_alu 0xfffe
	s_add_nc_u64 s[24:25], s[2:3], s[24:25]
	s_wait_alu 0xfffe
	v_add_co_u32 v4, s2, v4, s24
	s_delay_alu instid0(VALU_DEP_1) | instskip(SKIP_1) | instid1(VALU_DEP_1)
	s_cmp_lg_u32 s2, 0
	s_add_co_ci_u32 s2, s23, s25
	v_mul_hi_u32 v13, v5, v4
	s_wait_alu 0xfffe
	v_mad_co_u64_u32 v[7:8], null, v5, s2, 0
	v_mad_co_u64_u32 v[9:10], null, v6, v4, 0
	;; [unrolled: 1-line block ×3, first 2 shown]
	s_delay_alu instid0(VALU_DEP_3) | instskip(SKIP_1) | instid1(VALU_DEP_4)
	v_add_co_u32 v4, vcc_lo, v13, v7
	s_wait_alu 0xfffd
	v_add_co_ci_u32_e32 v7, vcc_lo, 0, v8, vcc_lo
	s_delay_alu instid0(VALU_DEP_2) | instskip(SKIP_1) | instid1(VALU_DEP_2)
	v_add_co_u32 v4, vcc_lo, v4, v9
	s_wait_alu 0xfffd
	v_add_co_ci_u32_e32 v4, vcc_lo, v7, v10, vcc_lo
	s_wait_alu 0xfffd
	v_add_co_ci_u32_e32 v7, vcc_lo, 0, v12, vcc_lo
	s_delay_alu instid0(VALU_DEP_2) | instskip(SKIP_1) | instid1(VALU_DEP_2)
	v_add_co_u32 v4, vcc_lo, v4, v11
	s_wait_alu 0xfffd
	v_add_co_ci_u32_e32 v9, vcc_lo, 0, v7, vcc_lo
	s_delay_alu instid0(VALU_DEP_2) | instskip(SKIP_1) | instid1(VALU_DEP_3)
	v_mul_lo_u32 v10, s19, v4
	v_mad_co_u64_u32 v[7:8], null, s18, v4, 0
	v_mul_lo_u32 v11, s18, v9
	s_delay_alu instid0(VALU_DEP_2) | instskip(NEXT) | instid1(VALU_DEP_2)
	v_sub_co_u32 v7, vcc_lo, v5, v7
	v_add3_u32 v8, v8, v11, v10
	s_delay_alu instid0(VALU_DEP_1) | instskip(SKIP_1) | instid1(VALU_DEP_1)
	v_sub_nc_u32_e32 v10, v6, v8
	s_wait_alu 0xfffd
	v_subrev_co_ci_u32_e64 v10, s2, s19, v10, vcc_lo
	v_add_co_u32 v11, s2, v4, 2
	s_wait_alu 0xf1ff
	v_add_co_ci_u32_e64 v12, s2, 0, v9, s2
	v_sub_co_u32 v13, s2, v7, s18
	v_sub_co_ci_u32_e32 v8, vcc_lo, v6, v8, vcc_lo
	s_wait_alu 0xf1ff
	v_subrev_co_ci_u32_e64 v10, s2, 0, v10, s2
	s_delay_alu instid0(VALU_DEP_3) | instskip(NEXT) | instid1(VALU_DEP_3)
	v_cmp_le_u32_e32 vcc_lo, s18, v13
	v_cmp_eq_u32_e64 s2, s19, v8
	s_wait_alu 0xfffd
	v_cndmask_b32_e64 v13, 0, -1, vcc_lo
	v_cmp_le_u32_e32 vcc_lo, s19, v10
	s_wait_alu 0xfffd
	v_cndmask_b32_e64 v14, 0, -1, vcc_lo
	v_cmp_le_u32_e32 vcc_lo, s18, v7
	;; [unrolled: 3-line block ×3, first 2 shown]
	s_wait_alu 0xfffd
	v_cndmask_b32_e64 v15, 0, -1, vcc_lo
	v_cmp_eq_u32_e32 vcc_lo, s19, v10
	s_wait_alu 0xf1ff
	s_delay_alu instid0(VALU_DEP_2)
	v_cndmask_b32_e64 v7, v15, v7, s2
	s_wait_alu 0xfffd
	v_cndmask_b32_e32 v10, v14, v13, vcc_lo
	v_add_co_u32 v13, vcc_lo, v4, 1
	s_wait_alu 0xfffd
	v_add_co_ci_u32_e32 v14, vcc_lo, 0, v9, vcc_lo
	s_delay_alu instid0(VALU_DEP_3) | instskip(SKIP_2) | instid1(VALU_DEP_3)
	v_cmp_ne_u32_e32 vcc_lo, 0, v10
	s_wait_alu 0xfffd
	v_cndmask_b32_e32 v10, v13, v11, vcc_lo
	v_cndmask_b32_e32 v8, v14, v12, vcc_lo
	v_cmp_ne_u32_e32 vcc_lo, 0, v7
	s_wait_alu 0xfffd
	s_delay_alu instid0(VALU_DEP_2)
	v_dual_cndmask_b32 v7, v4, v10 :: v_dual_cndmask_b32 v8, v9, v8
.LBB0_4:                                ;   in Loop: Header=BB0_2 Depth=1
	s_wait_alu 0xfffe
	s_and_not1_saveexec_b32 s2, s20
	s_cbranch_execz .LBB0_6
; %bb.5:                                ;   in Loop: Header=BB0_2 Depth=1
	v_cvt_f32_u32_e32 v4, s18
	s_sub_co_i32 s20, 0, s18
	s_delay_alu instid0(VALU_DEP_1) | instskip(NEXT) | instid1(TRANS32_DEP_1)
	v_rcp_iflag_f32_e32 v4, v4
	v_mul_f32_e32 v4, 0x4f7ffffe, v4
	s_delay_alu instid0(VALU_DEP_1) | instskip(SKIP_1) | instid1(VALU_DEP_1)
	v_cvt_u32_f32_e32 v4, v4
	s_wait_alu 0xfffe
	v_mul_lo_u32 v7, s20, v4
	s_delay_alu instid0(VALU_DEP_1) | instskip(NEXT) | instid1(VALU_DEP_1)
	v_mul_hi_u32 v7, v4, v7
	v_add_nc_u32_e32 v4, v4, v7
	s_delay_alu instid0(VALU_DEP_1) | instskip(NEXT) | instid1(VALU_DEP_1)
	v_mul_hi_u32 v4, v5, v4
	v_mul_lo_u32 v7, v4, s18
	v_add_nc_u32_e32 v8, 1, v4
	s_delay_alu instid0(VALU_DEP_2) | instskip(NEXT) | instid1(VALU_DEP_1)
	v_sub_nc_u32_e32 v7, v5, v7
	v_subrev_nc_u32_e32 v9, s18, v7
	v_cmp_le_u32_e32 vcc_lo, s18, v7
	s_wait_alu 0xfffd
	s_delay_alu instid0(VALU_DEP_2) | instskip(NEXT) | instid1(VALU_DEP_1)
	v_dual_cndmask_b32 v7, v7, v9 :: v_dual_cndmask_b32 v4, v4, v8
	v_cmp_le_u32_e32 vcc_lo, s18, v7
	s_delay_alu instid0(VALU_DEP_2) | instskip(SKIP_1) | instid1(VALU_DEP_1)
	v_add_nc_u32_e32 v8, 1, v4
	s_wait_alu 0xfffd
	v_dual_cndmask_b32 v7, v4, v8 :: v_dual_mov_b32 v8, v3
.LBB0_6:                                ;   in Loop: Header=BB0_2 Depth=1
	s_wait_alu 0xfffe
	s_or_b32 exec_lo, exec_lo, s2
	s_load_b64 s[20:21], s[12:13], 0x0
	s_delay_alu instid0(VALU_DEP_1)
	v_mul_lo_u32 v4, v8, s18
	v_mul_lo_u32 v11, v7, s19
	v_mad_co_u64_u32 v[9:10], null, v7, s18, 0
	s_add_nc_u64 s[14:15], s[14:15], 1
	s_add_nc_u64 s[12:13], s[12:13], 8
	s_wait_alu 0xfffe
	v_cmp_ge_u64_e64 s2, s[14:15], s[6:7]
	s_add_nc_u64 s[16:17], s[16:17], 8
	s_delay_alu instid0(VALU_DEP_2) | instskip(NEXT) | instid1(VALU_DEP_3)
	v_add3_u32 v4, v10, v11, v4
	v_sub_co_u32 v5, vcc_lo, v5, v9
	s_wait_alu 0xfffd
	s_delay_alu instid0(VALU_DEP_2) | instskip(SKIP_3) | instid1(VALU_DEP_2)
	v_sub_co_ci_u32_e32 v4, vcc_lo, v6, v4, vcc_lo
	s_and_b32 vcc_lo, exec_lo, s2
	s_wait_kmcnt 0x0
	v_mul_lo_u32 v6, s21, v5
	v_mul_lo_u32 v4, s20, v4
	v_mad_co_u64_u32 v[1:2], null, s20, v5, v[1:2]
	s_delay_alu instid0(VALU_DEP_1)
	v_add3_u32 v2, v6, v2, v4
	s_wait_alu 0xfffe
	s_cbranch_vccnz .LBB0_9
; %bb.7:                                ;   in Loop: Header=BB0_2 Depth=1
	v_dual_mov_b32 v5, v7 :: v_dual_mov_b32 v6, v8
	s_branch .LBB0_2
.LBB0_8:
	v_dual_mov_b32 v8, v6 :: v_dual_mov_b32 v7, v5
.LBB0_9:
	s_lshl_b64 s[2:3], s[6:7], 3
	v_mul_hi_u32 v5, 0x28f5c29, v0
	s_wait_alu 0xfffe
	s_add_nc_u64 s[2:3], s[10:11], s[2:3]
                                        ; implicit-def: $vgpr18
                                        ; implicit-def: $vgpr30
                                        ; implicit-def: $vgpr24
                                        ; implicit-def: $vgpr28
                                        ; implicit-def: $vgpr25
                                        ; implicit-def: $vgpr27
                                        ; implicit-def: $vgpr26
                                        ; implicit-def: $vgpr29
                                        ; implicit-def: $vgpr52
                                        ; implicit-def: $vgpr51
                                        ; implicit-def: $vgpr53
                                        ; implicit-def: $vgpr50
                                        ; implicit-def: $vgpr54
                                        ; implicit-def: $vgpr49
                                        ; implicit-def: $vgpr55
                                        ; implicit-def: $vgpr42
                                        ; implicit-def: $vgpr6
                                        ; implicit-def: $vgpr34
                                        ; implicit-def: $vgpr17
                                        ; implicit-def: $vgpr35
                                        ; implicit-def: $vgpr31
                                        ; implicit-def: $vgpr36
                                        ; implicit-def: $vgpr23
                                        ; implicit-def: $vgpr37
                                        ; implicit-def: $vgpr32
                                        ; implicit-def: $vgpr19
                                        ; implicit-def: $vgpr20
                                        ; implicit-def: $vgpr22
                                        ; implicit-def: $vgpr21
                                        ; implicit-def: $vgpr11
                                        ; implicit-def: $vgpr38
                                        ; implicit-def: $vgpr41
                                        ; implicit-def: $vgpr43
                                        ; implicit-def: $vgpr33
                                        ; implicit-def: $vgpr13
                                        ; implicit-def: $vgpr14
                                        ; implicit-def: $vgpr15
                                        ; implicit-def: $vgpr12
	s_load_b64 s[2:3], s[2:3], 0x0
	s_load_b64 s[0:1], s[0:1], 0x20
	s_wait_kmcnt 0x0
	v_mul_lo_u32 v3, s2, v8
	v_mul_lo_u32 v4, s3, v7
	v_mad_co_u64_u32 v[1:2], null, s2, v7, v[1:2]
	v_cmp_gt_u64_e32 vcc_lo, s[0:1], v[7:8]
                                        ; implicit-def: $vgpr7
	s_delay_alu instid0(VALU_DEP_2) | instskip(SKIP_1) | instid1(VALU_DEP_2)
	v_add3_u32 v2, v4, v2, v3
	v_mul_u32_u24_e32 v3, 0x64, v5
                                        ; implicit-def: $vgpr5
                                        ; implicit-def: $vgpr4
	v_lshlrev_b64_e32 v[8:9], 2, v[1:2]
	s_delay_alu instid0(VALU_DEP_2)
	v_sub_nc_u32_e32 v10, v0, v3
                                        ; implicit-def: $vgpr2
                                        ; implicit-def: $vgpr0
                                        ; implicit-def: $vgpr1
                                        ; implicit-def: $vgpr3
	s_and_saveexec_b32 s1, vcc_lo
	s_cbranch_execz .LBB0_11
; %bb.10:
	v_mov_b32_e32 v11, 0
	s_delay_alu instid0(VALU_DEP_3) | instskip(SKIP_2) | instid1(VALU_DEP_3)
	v_add_co_u32 v2, s0, s8, v8
	s_wait_alu 0xf1ff
	v_add_co_ci_u32_e64 v3, s0, s9, v9, s0
	v_lshlrev_b64_e32 v[0:1], 2, v[10:11]
	s_delay_alu instid0(VALU_DEP_1) | instskip(SKIP_1) | instid1(VALU_DEP_2)
	v_add_co_u32 v6, s0, v2, v0
	s_wait_alu 0xf1ff
	v_add_co_ci_u32_e64 v7, s0, v3, v1, s0
	s_clause 0x1d
	global_load_b32 v3, v[6:7], off
	global_load_b32 v1, v[6:7], off offset:400
	global_load_b32 v42, v[6:7], off offset:2800
	;; [unrolled: 1-line block ×29, first 2 shown]
	s_wait_loadcnt 0x1d
	v_lshrrev_b32_e32 v7, 16, v3
	s_wait_loadcnt 0x1c
	v_lshrrev_b32_e32 v6, 16, v1
	;; [unrolled: 2-line block ×15, first 2 shown]
.LBB0_11:
	s_wait_alu 0xfffe
	s_or_b32 exec_lo, exec_lo, s1
	v_add_f16_e32 v39, v32, v3
	v_add_f16_e32 v16, v31, v23
	;; [unrolled: 1-line block ×3, first 2 shown]
	v_sub_f16_e32 v48, v23, v32
	v_sub_f16_e32 v57, v31, v17
	v_add_f16_e32 v39, v23, v39
	v_fma_f16 v47, -0.5, v16, v3
	v_fmac_f16_e32 v3, -0.5, v46
	v_add_f16_e32 v46, v35, v36
	v_sub_f16_e32 v40, v37, v34
	v_add_f16_e32 v39, v31, v39
	v_sub_f16_e32 v44, v36, v35
	v_sub_f16_e32 v45, v32, v23
	;; [unrolled: 1-line block ×3, first 2 shown]
	v_fmamk_f16 v56, v40, 0x3b9c, v47
	v_add_f16_e32 v58, v17, v39
	v_add_f16_e32 v39, v57, v48
	;; [unrolled: 1-line block ×3, first 2 shown]
	v_fma_f16 v57, -0.5, v46, v7
	v_sub_f16_e32 v46, v32, v17
	v_add_f16_e32 v45, v16, v45
	v_fmac_f16_e32 v47, 0xbb9c, v40
	v_add_f16_e32 v32, v36, v48
	v_fmamk_f16 v16, v44, 0xbb9c, v3
	v_fmac_f16_e32 v3, 0x3b9c, v44
	v_fmac_f16_e32 v56, 0x38b4, v44
	;; [unrolled: 1-line block ×3, first 2 shown]
	v_add_f16_e32 v32, v35, v32
	v_fmac_f16_e32 v16, 0x38b4, v40
	v_fmamk_f16 v17, v46, 0xbb9c, v57
	v_sub_f16_e32 v23, v23, v31
	v_sub_f16_e32 v31, v37, v36
	v_sub_f16_e32 v44, v34, v35
	v_fmac_f16_e32 v3, 0xb8b4, v40
	v_add_f16_e32 v40, v34, v37
	v_add_f16_e32 v59, v34, v32
	v_fmac_f16_e32 v57, 0x3b9c, v46
	v_sub_f16_e32 v32, v36, v37
	v_sub_f16_e32 v34, v35, v34
	s_wait_loadcnt 0x2
	v_pk_add_f16 v35, v21, v22 neg_lo:[0,1] neg_hi:[0,1]
	v_pk_add_f16 v37, v20, v19 neg_lo:[0,1] neg_hi:[0,1]
	v_fmac_f16_e32 v17, 0xb8b4, v23
	v_add_f16_e32 v44, v44, v31
	v_fmac_f16_e32 v7, -0.5, v40
	v_fmac_f16_e32 v57, 0x38b4, v23
	v_add_f16_e32 v32, v34, v32
	v_pk_add_f16 v36, v22, v19 neg_lo:[0,1] neg_hi:[0,1]
	v_pk_add_f16 v34, v37, v35
	v_add_f16_e32 v37, v21, v11
	v_fmac_f16_e32 v17, 0x34f2, v44
	v_fmamk_f16 v31, v23, 0x3b9c, v7
	v_fmac_f16_e32 v57, 0x34f2, v44
	v_fmac_f16_e32 v7, 0xbb9c, v23
	v_add_f16_e32 v23, v19, v22
	v_pk_add_f16 v35, v21, v20 neg_lo:[0,1] neg_hi:[0,1]
	v_bfi_b32 v34, 0xffff, v34, v36
	v_add_f16_e32 v37, v22, v37
	v_lshrrev_b32_e32 v40, 16, v22
	v_lshrrev_b32_e32 v44, 16, v19
	v_fmac_f16_e32 v16, 0x34f2, v39
	v_fmac_f16_e32 v3, 0x34f2, v39
	v_fma_f16 v23, -0.5, v23, v11
	v_lshrrev_b32_e32 v39, 16, v35
	v_pk_mul_f16 v34, 0x38b434f2, v34
	v_lshrrev_b32_e32 v48, 16, v21
	v_lshrrev_b32_e32 v60, 16, v11
	v_add_f16_e32 v61, v44, v40
	v_add_f16_e32 v37, v19, v37
	v_fmac_f16_e32 v56, 0x34f2, v45
	v_fmac_f16_e32 v47, 0x34f2, v45
	;; [unrolled: 1-line block ×4, first 2 shown]
	v_fmamk_f16 v45, v39, 0x3b9c, v23
	v_lshrrev_b32_e32 v46, 16, v34
	v_fmac_f16_e32 v23, 0xbb9c, v39
	v_add_f16_e32 v39, v48, v60
	v_fmac_f16_e32 v60, -0.5, v61
	v_add_f16_e32 v61, v20, v37
	v_lshrrev_b32_e32 v37, 16, v20
	v_add_f16_e32 v45, v46, v45
	v_sub_f16_e32 v23, v23, v46
	v_fmamk_f16 v46, v35, 0xbb9c, v60
	v_sub_f16_e32 v48, v48, v40
	v_sub_f16_e32 v62, v37, v44
	v_add_f16_e32 v45, v34, v45
	v_add_f16_e32 v23, v34, v23
	;; [unrolled: 1-line block ×3, first 2 shown]
	v_fmac_f16_e32 v60, 0x3b9c, v35
	v_fmac_f16_e32 v46, 0xb8b4, v36
	v_add_f16_e32 v39, v62, v48
	v_pk_add_f16 v62, v20, v21
	v_pk_add_f16 v48, v22, v21 neg_lo:[0,1] neg_hi:[0,1]
	v_fmac_f16_e32 v60, 0x38b4, v36
	v_add_f16_e32 v21, v44, v34
	v_fmac_f16_e32 v46, 0x34f2, v39
	v_mul_f16_e32 v63, 0x3a79, v45
	v_mul_f16_e32 v34, 0xb8b4, v45
	v_pk_add_f16 v64, v19, v20 neg_lo:[0,1] neg_hi:[0,1]
	v_fmac_f16_e32 v60, 0x34f2, v39
	v_mul_f16_e32 v19, 0x3a79, v23
	v_fmac_f16_e32 v63, 0x38b4, v46
	v_fmac_f16_e32 v34, 0x3a79, v46
	v_add_f16_e32 v46, v50, v49
	v_add_f16_e32 v20, v37, v21
	v_mul_f16_e32 v21, 0x3a79, v60
	v_fma_f16 v45, v60, 0x38b4, -v19
	v_add_f16_e32 v37, v61, v58
	v_sub_f16_e32 v44, v58, v61
	v_add_f16_e32 v58, v42, v1
	v_fma_f16 v60, -0.5, v46, v1
	v_sub_f16_e32 v61, v55, v52
	v_add_f16_e32 v39, v56, v63
	v_add_f16_e32 v40, v47, v45
	;; [unrolled: 1-line block ×3, first 2 shown]
	v_sub_f16_e32 v46, v56, v63
	v_sub_f16_e32 v45, v47, v45
	v_sub_f16_e32 v20, v59, v20
	v_add_f16_e32 v47, v49, v58
	v_fmamk_f16 v56, v61, 0x3b9c, v60
	v_sub_f16_e32 v58, v54, v53
	v_sub_f16_e32 v59, v42, v49
	;; [unrolled: 1-line block ×3, first 2 shown]
	v_fmac_f16_e32 v60, 0xbb9c, v61
	v_add_f16_e32 v65, v51, v42
	v_fmac_f16_e32 v56, 0x38b4, v58
	v_fma_f16 v21, v23, 0xb8b4, -v21
	v_add_f16_e32 v59, v63, v59
	v_fmac_f16_e32 v60, 0xb8b4, v58
	v_add_f16_e32 v47, v50, v47
	v_fmac_f16_e32 v1, -0.5, v65
	v_add_f16_e32 v66, v55, v6
	v_fmac_f16_e32 v56, 0x34f2, v59
	v_fmac_f16_e32 v60, 0x34f2, v59
	v_add_f16_e32 v59, v53, v54
	v_add_f16_e32 v19, v57, v21
	v_sub_f16_e32 v21, v57, v21
	v_add_f16_e32 v57, v51, v47
	v_fmamk_f16 v47, v58, 0xbb9c, v1
	v_sub_f16_e32 v63, v49, v42
	v_sub_f16_e32 v65, v50, v51
	v_fma_f16 v59, -0.5, v59, v6
	v_sub_f16_e32 v51, v42, v51
	v_fmac_f16_e32 v1, 0x3b9c, v58
	v_add_f16_e32 v58, v54, v66
	v_add_f16_e32 v63, v65, v63
	v_sub_f16_e32 v49, v49, v50
	v_fmamk_f16 v42, v51, 0xbb9c, v59
	v_sub_f16_e32 v50, v55, v54
	v_sub_f16_e32 v65, v52, v53
	v_add_f16_e32 v58, v53, v58
	v_fmac_f16_e32 v59, 0x3b9c, v51
	v_fmac_f16_e32 v47, 0x38b4, v61
	;; [unrolled: 1-line block ×4, first 2 shown]
	v_add_f16_e32 v50, v65, v50
	v_add_f16_e32 v61, v52, v55
	;; [unrolled: 1-line block ×3, first 2 shown]
	v_sub_f16_e32 v54, v54, v55
	v_sub_f16_e32 v52, v53, v52
	v_fmac_f16_e32 v59, 0x38b4, v49
	s_wait_loadcnt 0x1
	v_pk_add_f16 v53, v33, v43 neg_lo:[0,1] neg_hi:[0,1]
	v_pk_add_f16 v55, v41, v38 neg_lo:[0,1] neg_hi:[0,1]
	v_fmac_f16_e32 v42, 0x34f2, v50
	v_fmac_f16_e32 v6, -0.5, v61
	v_fmac_f16_e32 v59, 0x34f2, v50
	v_pk_add_f16 v50, v43, v38 neg_lo:[0,1] neg_hi:[0,1]
	v_pk_add_f16 v53, v55, v53
	v_add_f16_e32 v52, v52, v54
	v_add_f16_e32 v54, v38, v43
	v_pk_add_f16 v55, v33, v41 neg_lo:[0,1] neg_hi:[0,1]
	v_fmamk_f16 v61, v49, 0x3b9c, v6
	v_bfi_b32 v53, 0xffff, v53, v50
	v_fmac_f16_e32 v6, 0xbb9c, v49
	v_fma_f16 v49, -0.5, v54, v5
	v_lshrrev_b32_e32 v54, 16, v55
	v_lshrrev_b32_e32 v65, 16, v43
	v_pk_mul_f16 v53, 0x38b434f2, v53
	v_lshrrev_b32_e32 v66, 16, v38
	v_lshrrev_b32_e32 v69, 16, v33
	v_fmamk_f16 v67, v54, 0x3b9c, v49
	v_lshrrev_b32_e32 v70, 16, v5
	v_lshrrev_b32_e32 v68, 16, v53
	v_add_f16_e32 v71, v66, v65
	v_fmac_f16_e32 v61, 0xb8b4, v51
	v_fmac_f16_e32 v6, 0x38b4, v51
	;; [unrolled: 1-line block ×3, first 2 shown]
	v_add_f16_e32 v51, v68, v67
	v_add_f16_e32 v67, v69, v70
	v_fmac_f16_e32 v70, -0.5, v71
	v_lshrrev_b32_e32 v71, 16, v41
	v_sub_f16_e32 v69, v69, v65
	v_fmac_f16_e32 v47, 0x34f2, v63
	v_add_f16_e32 v65, v65, v67
	v_fmamk_f16 v54, v55, 0xbb9c, v70
	v_sub_f16_e32 v72, v71, v66
	v_fmac_f16_e32 v70, 0x3b9c, v55
	v_fmac_f16_e32 v1, 0x34f2, v63
	v_add_f16_e32 v63, v33, v5
	v_add_f16_e32 v51, v53, v51
	;; [unrolled: 1-line block ×3, first 2 shown]
	v_fmac_f16_e32 v70, 0x38b4, v50
	v_sub_f16_e32 v49, v49, v68
	v_fmac_f16_e32 v54, 0xb8b4, v50
	v_add_f16_e32 v63, v43, v63
	v_add_f16_e32 v65, v66, v65
	v_fmac_f16_e32 v70, 0x34f2, v67
	v_add_f16_e32 v49, v53, v49
	v_pk_add_f16 v53, v41, v33
	v_fmac_f16_e32 v54, 0x34f2, v67
	v_mul_f16_e32 v66, 0x3a79, v51
	v_pk_add_f16 v68, v43, v33 neg_lo:[0,1] neg_hi:[0,1]
	v_mul_f16_e32 v51, 0xb8b4, v51
	v_mul_f16_e32 v33, 0x3a79, v70
	v_add_f16_e32 v63, v38, v63
	v_mul_f16_e32 v67, 0x3a79, v49
	v_fmac_f16_e32 v66, 0x38b4, v54
	v_fmac_f16_e32 v51, 0x3a79, v54
	v_fma_f16 v49, v49, 0xb8b4, -v33
	v_add_f16_e32 v54, v29, v0
	v_sub_f16_e32 v73, v29, v27
	v_sub_f16_e32 v74, v30, v28
	v_add_f16_e32 v63, v41, v63
	v_pk_add_f16 v69, v38, v41 neg_lo:[0,1] neg_hi:[0,1]
	v_add_f16_e32 v43, v71, v65
	v_fma_f16 v65, v70, 0x38b4, -v67
	v_add_f16_e32 v72, v28, v27
	v_add_f16_e32 v38, v59, v49
	v_add_f16_e32 v54, v27, v54
	v_sub_f16_e32 v49, v59, v49
	v_add_f16_e32 v59, v74, v73
	v_sub_f16_e32 v73, v27, v29
	v_sub_f16_e32 v74, v28, v30
	v_add_f16_e32 v67, v63, v57
	v_add_f16_e32 v71, v60, v65
	v_sub_f16_e32 v57, v57, v63
	v_fma_f16 v63, -0.5, v72, v0
	v_sub_f16_e32 v72, v26, v18
	v_sub_f16_e32 v60, v60, v65
	v_add_f16_e32 v54, v28, v54
	v_add_f16_e32 v65, v30, v29
	;; [unrolled: 1-line block ×6, first 2 shown]
	v_sub_f16_e32 v56, v56, v66
	v_sub_f16_e32 v43, v58, v43
	v_fmamk_f16 v58, v72, 0x3b9c, v63
	v_sub_f16_e32 v66, v25, v24
	v_fmac_f16_e32 v0, -0.5, v65
	v_add_f16_e32 v54, v30, v54
	v_fmac_f16_e32 v63, 0xbb9c, v72
	v_add_f16_e32 v75, v24, v25
	v_sub_f16_e32 v29, v29, v30
	v_add_f16_e32 v30, v25, v74
	v_fmac_f16_e32 v58, 0x38b4, v66
	v_fmamk_f16 v65, v66, 0xbb9c, v0
	v_fmac_f16_e32 v63, 0xb8b4, v66
	v_fma_f16 v75, -0.5, v75, v2
	v_fmac_f16_e32 v0, 0x3b9c, v66
	v_add_f16_e32 v30, v24, v30
	v_fmac_f16_e32 v58, 0x34f2, v59
	v_fmac_f16_e32 v65, 0x38b4, v72
	;; [unrolled: 1-line block ×3, first 2 shown]
	v_fmamk_f16 v59, v29, 0xbb9c, v75
	v_sub_f16_e32 v27, v27, v28
	v_sub_f16_e32 v28, v26, v25
	;; [unrolled: 1-line block ×3, first 2 shown]
	v_fmac_f16_e32 v0, 0xb8b4, v72
	v_add_f16_e32 v72, v18, v26
	v_fmac_f16_e32 v75, 0x3b9c, v29
	v_add_f16_e32 v30, v18, v30
	v_sub_f16_e32 v25, v25, v26
	v_sub_f16_e32 v18, v24, v18
	s_wait_loadcnt 0x0
	v_pk_add_f16 v24, v12, v15 neg_lo:[0,1] neg_hi:[0,1]
	v_pk_add_f16 v26, v14, v13 neg_lo:[0,1] neg_hi:[0,1]
	v_fmac_f16_e32 v59, 0xb8b4, v27
	v_add_f16_e32 v28, v66, v28
	v_fmac_f16_e32 v75, 0x38b4, v27
	v_add_f16_e32 v18, v18, v25
	v_pk_add_f16 v25, v15, v13 neg_lo:[0,1] neg_hi:[0,1]
	v_pk_add_f16 v24, v26, v24
	v_fmac_f16_e32 v2, -0.5, v72
	v_fmac_f16_e32 v59, 0x34f2, v28
	v_fmac_f16_e32 v75, 0x34f2, v28
	v_add_f16_e32 v26, v13, v15
	v_pk_add_f16 v28, v12, v14 neg_lo:[0,1] neg_hi:[0,1]
	v_bfi_b32 v24, 0xffff, v24, v25
	v_fmac_f16_e32 v65, 0x34f2, v73
	v_fmac_f16_e32 v0, 0x34f2, v73
	v_fmamk_f16 v66, v27, 0x3b9c, v2
	v_fmac_f16_e32 v2, 0xbb9c, v27
	v_fma_f16 v26, -0.5, v26, v4
	v_lshrrev_b32_e32 v72, 16, v28
	v_pk_mul_f16 v24, 0x38b434f2, v24
	v_lshrrev_b32_e32 v73, 16, v15
	v_lshrrev_b32_e32 v74, 16, v13
	v_fmac_f16_e32 v66, 0xb8b4, v29
	v_fmac_f16_e32 v2, 0x38b4, v29
	v_fmamk_f16 v29, v72, 0x3b9c, v26
	v_lshrrev_b32_e32 v76, 16, v24
	v_fmac_f16_e32 v26, 0xbb9c, v72
	v_lshrrev_b32_e32 v72, 16, v12
	v_lshrrev_b32_e32 v77, 16, v4
	v_add_f16_e32 v78, v74, v73
	v_add_f16_e32 v27, v12, v4
	;; [unrolled: 1-line block ×3, first 2 shown]
	v_sub_f16_e32 v26, v26, v76
	v_add_f16_e32 v76, v72, v77
	v_fmac_f16_e32 v77, -0.5, v78
	v_lshrrev_b32_e32 v78, 16, v14
	v_add_f16_e32 v27, v15, v27
	v_add_f16_e32 v29, v24, v29
	;; [unrolled: 1-line block ×3, first 2 shown]
	v_fmamk_f16 v26, v28, 0xbb9c, v77
	v_sub_f16_e32 v72, v72, v73
	v_sub_f16_e32 v79, v78, v74
	v_add_f16_e32 v27, v13, v27
	v_fmac_f16_e32 v77, 0x3b9c, v28
	v_fmac_f16_e32 v26, 0xb8b4, v25
	v_pk_add_f16 v80, v14, v12
	v_add_f16_e32 v72, v79, v72
	v_add_f16_e32 v27, v14, v27
	v_pk_add_f16 v12, v15, v12 neg_lo:[0,1] neg_hi:[0,1]
	v_pk_add_f16 v15, v13, v14 neg_lo:[0,1] neg_hi:[0,1]
	v_mul_f16_e32 v14, 0x3a79, v29
	v_fmac_f16_e32 v26, 0x34f2, v72
	v_add_f16_e32 v73, v73, v76
	v_fmac_f16_e32 v77, 0x38b4, v25
	v_mul_f16_e32 v29, 0xb8b4, v29
	v_pk_fma_f16 v11, v62, 0.5, v11 op_sel_hi:[1,0,1] neg_lo:[1,0,0] neg_hi:[1,0,0]
	v_fmac_f16_e32 v14, 0x38b4, v26
	v_pk_mul_f16 v36, 0x3b9c, v36 op_sel_hi:[0,1]
	v_add_f16_e32 v13, v74, v73
	v_fmac_f16_e32 v77, 0x34f2, v72
	v_add_f16_e32 v74, v27, v54
	v_fmac_f16_e32 v29, 0x3a79, v26
	v_add_f16_e32 v26, v58, v14
	v_sub_f16_e32 v27, v54, v27
	v_sub_f16_e32 v54, v58, v14
	v_mul_u32_u24_e32 v14, 10, v10
	v_pk_mul_f16 v35, 0x38b4, v35 op_sel_hi:[0,1]
	v_pk_add_f16 v58, v11, v36 op_sel:[0,1] op_sel_hi:[1,0] neg_lo:[0,1] neg_hi:[0,1]
	v_pk_add_f16 v11, v36, v11 op_sel:[1,0] op_sel_hi:[0,1]
	v_mul_f16_e32 v72, 0x3a79, v24
	v_mul_f16_e32 v73, 0x3a79, v77
	v_lshl_add_u32 v62, v14, 1, 0
	v_pk_add_f16 v14, v64, v48
	v_pk_add_f16 v48, v35, v58 op_sel:[1,0] op_sel_hi:[0,1]
	v_pk_add_f16 v11, v11, v35 op_sel:[0,1] op_sel_hi:[1,0] neg_lo:[0,1] neg_hi:[0,1]
	v_fma_f16 v72, v77, 0x38b4, -v72
	v_fma_f16 v24, v24, 0xb8b4, -v73
	v_add_f16_e32 v13, v78, v13
	v_pk_fma_f16 v48, 0x34f2, v14, v48 op_sel_hi:[0,1,1]
	v_pk_fma_f16 v11, 0x34f2, v14, v11 op_sel_hi:[0,1,1]
	v_add_f16_e32 v73, v63, v72
	v_add_f16_e32 v78, v75, v24
	v_sub_f16_e32 v36, v63, v72
	v_sub_f16_e32 v24, v75, v24
	v_mul_f16_e32 v64, 0x34f2, v48
	v_lshrrev_b32_e32 v14, 16, v11
	v_mul_f16_e32 v72, 0x34f2, v11
	v_lshrrev_b32_e32 v75, 16, v48
	v_mul_f16_e32 v32, 0x34f2, v32
	v_pack_b32_f16 v7, v7, v31
	v_pk_mul_f16 v31, 0x34f23b9c, v48
	v_fmac_f16_e32 v64, 0x3b9c, v14
	v_fma_f16 v48, v75, 0x3b9c, -v72
	v_pk_fma_f16 v5, v53, 0.5, v5 op_sel_hi:[1,0,1] neg_lo:[1,0,0] neg_hi:[1,0,0]
	v_pk_mul_f16 v50, 0x3b9c, v50 op_sel_hi:[0,1]
	v_pk_add_f16 v7, v32, v7 op_sel_hi:[0,1]
	v_pk_fma_f16 v11, 0x34f2bb9c, v11, v31 op_sel:[0,0,1] op_sel_hi:[1,1,0] neg_lo:[0,0,1] neg_hi:[0,0,1]
	v_add_f16_e32 v31, v16, v64
	v_add_f16_e32 v32, v3, v48
	v_sub_f16_e32 v3, v3, v48
	v_pk_mul_f16 v48, 0x38b4, v55 op_sel_hi:[0,1]
	v_pk_add_f16 v55, v5, v50 op_sel:[0,1] op_sel_hi:[1,0] neg_lo:[0,1] neg_hi:[0,1]
	v_pk_add_f16 v5, v50, v5 op_sel:[1,0] op_sel_hi:[0,1]
	v_pack_b32_f16 v31, v31, v32
	v_pk_add_f16 v32, v69, v68
	v_pack_b32_f16 v37, v37, v39
	v_pk_add_f16 v55, v48, v55 op_sel:[1,0] op_sel_hi:[0,1]
	v_pk_add_f16 v5, v5, v48 op_sel:[0,1] op_sel_hi:[1,0] neg_lo:[0,1] neg_hi:[0,1]
	v_pack_b32_f16 v39, v40, v44
	v_add_f16_e32 v23, v17, v34
	v_pk_add_f16 v53, v7, v11
	v_pk_fma_f16 v40, 0x34f2, v32, v55 op_sel_hi:[0,1,1]
	v_pk_fma_f16 v5, 0x34f2, v32, v5 op_sel_hi:[0,1,1]
	v_sub_f16_e32 v50, v7, v11
	v_bfi_b32 v7, 0xffff, v17, v7
	v_bfi_b32 v11, 0xffff, v34, v11
	v_mul_f16_e32 v17, 0x34f2, v40
	v_lshrrev_b32_e32 v32, 16, v5
	v_mul_f16_e32 v34, 0x34f2, v5
	v_lshrrev_b32_e32 v44, 16, v40
	v_pk_fma_f16 v4, v80, 0.5, v4 op_sel_hi:[1,0,1] neg_lo:[1,0,0] neg_hi:[1,0,0]
	v_pk_mul_f16 v25, 0x3b9c, v25 op_sel_hi:[0,1]
	v_fmac_f16_e32 v17, 0x3b9c, v32
	v_pk_add_f16 v32, v7, v11 neg_lo:[0,1] neg_hi:[0,1]
	v_fma_f16 v7, v44, 0x3b9c, -v34
	v_pk_mul_f16 v28, 0x38b4, v28 op_sel_hi:[0,1]
	v_pk_add_f16 v12, v15, v12
	v_sub_f16_e32 v16, v16, v64
	v_pack_b32_f16 v3, v3, v45
	v_add_f16_e32 v34, v1, v7
	v_sub_f16_e32 v1, v1, v7
	v_pk_add_f16 v7, v25, v4 op_sel:[1,0] op_sel_hi:[0,1]
	v_pk_add_f16 v4, v4, v25 op_sel:[0,1] op_sel_hi:[1,0] neg_lo:[0,1] neg_hi:[0,1]
	v_pack_b32_f16 v16, v46, v16
	v_mul_f16_e32 v52, 0x34f2, v52
	v_pack_b32_f16 v1, v1, v60
	v_pk_add_f16 v7, v7, v28 op_sel:[0,1] op_sel_hi:[1,0] neg_lo:[0,1] neg_hi:[0,1]
	v_pk_add_f16 v4, v28, v4 op_sel:[1,0] op_sel_hi:[0,1]
	ds_store_2addr_b32 v62, v37, v31 offset1:1
	ds_store_2addr_b32 v62, v39, v16 offset0:2 offset1:3
	ds_store_b32 v62, v3 offset:16
	ds_store_b32 v62, v1 offset:2016
	v_pack_b32_f16 v6, v6, v61
	v_pk_mul_f16 v40, 0x34f23b9c, v40
	v_pk_fma_f16 v7, 0x34f2, v12, v7 op_sel_hi:[0,1,1]
	v_pk_fma_f16 v4, 0x34f2, v12, v4 op_sel_hi:[0,1,1]
	v_mul_f16_e32 v18, 0x34f2, v18
	v_pack_b32_f16 v2, v2, v66
	v_pk_add_f16 v6, v52, v6 op_sel_hi:[0,1]
	v_lshrrev_b32_e32 v3, 16, v7
	v_mul_f16_e32 v1, 0x34f2, v4
	v_mul_f16_e32 v12, 0x34f2, v7
	v_lshrrev_b32_e32 v16, 16, v4
	v_pk_mul_f16 v4, 0x34f23b9c, v4
	v_pk_fma_f16 v5, 0x34f2bb9c, v5, v40 op_sel:[0,0,1] op_sel_hi:[1,1,0] neg_lo:[0,0,1] neg_hi:[0,0,1]
	v_fmac_f16_e32 v1, 0x3b9c, v3
	v_add_f16_e32 v11, v47, v17
	v_fma_f16 v3, v16, 0x3b9c, -v12
	v_sub_f16_e32 v17, v47, v17
	v_pk_add_f16 v28, v18, v2 op_sel_hi:[0,1]
	v_pk_fma_f16 v4, 0x34f2bb9c, v7, v4 op_sel:[0,0,1] op_sel_hi:[1,1,0] neg_lo:[0,0,1] neg_hi:[0,0,1]
	v_add_f16_e32 v2, v65, v1
	v_add_f16_e32 v7, v0, v3
	v_pk_add_f16 v40, v6, v5
	v_sub_f16_e32 v44, v6, v5
	v_bfi_b32 v6, 0xffff, v42, v6
	v_bfi_b32 v5, 0xffff, v51, v5
	v_sub_f16_e32 v1, v65, v1
	v_sub_f16_e32 v0, v0, v3
	v_add_nc_u32_e32 v58, 0x7d8, v62
	v_pack_b32_f16 v15, v56, v17
	v_pack_b32_f16 v17, v71, v57
	v_add_nc_u32_e32 v63, 0xfa0, v62
	v_pack_b32_f16 v2, v2, v7
	v_pack_b32_f16 v3, v74, v26
	v_add_nc_u32_e32 v79, 0xfa8, v62
	v_pk_add_f16 v5, v6, v5 neg_lo:[0,1] neg_hi:[0,1]
	v_pack_b32_f16 v1, v54, v1
	v_pack_b32_f16 v6, v73, v27
	v_add_nc_u32_e32 v35, 0x7d0, v62
	v_pack_b32_f16 v11, v11, v34
	v_pack_b32_f16 v25, v67, v70
	;; [unrolled: 1-line block ×3, first 2 shown]
	ds_store_2addr_b32 v58, v17, v15 offset1:1
	ds_store_2addr_b32 v63, v3, v2 offset1:1
	;; [unrolled: 1-line block ×4, first 2 shown]
	ds_store_b32 v62, v0 offset:4016
	v_and_b32_e32 v1, 0xff, v10
	v_pack_b32_f16 v20, v19, v20
	v_add_f16_e32 v41, v42, v51
	v_mad_i32_i24 v14, 0xffffffee, v10, v62
	v_alignbit_b32 v3, v53, v53, 16
	v_mul_lo_u16 v19, 0xcd, v1
	v_pack_b32_f16 v22, v22, v23
	v_add_f16_e32 v76, v13, v30
	v_add_f16_e32 v77, v59, v29
	v_pk_add_f16 v31, v28, v4
	v_lshrrev_b16 v19, 11, v19
	v_pack_b32_f16 v21, v50, v21
	v_pack_b32_f16 v25, v33, v41
	;; [unrolled: 1-line block ×3, first 2 shown]
	v_sub_f16_e32 v30, v30, v13
	v_sub_f16_e32 v26, v28, v4
	global_wb scope:SCOPE_SE
	s_wait_dscnt 0x0
	s_barrier_signal -1
	s_barrier_wait -1
	global_inv scope:SCOPE_SE
	ds_load_u16 v51, v14 offset:4200
	ds_load_u16 v52, v14 offset:4400
	;; [unrolled: 1-line block ×8, first 2 shown]
	ds_load_u16 v18, v14
	ds_load_u16 v17, v14 offset:200
	ds_load_u16 v16, v14 offset:400
	;; [unrolled: 1-line block ×21, first 2 shown]
	global_wb scope:SCOPE_SE
	s_wait_dscnt 0x0
	s_barrier_signal -1
	s_barrier_wait -1
	global_inv scope:SCOPE_SE
	v_bfi_b32 v28, 0xffff, v59, v28
	v_bfi_b32 v4, 0xffff, v29, v4
	ds_store_2addr_b32 v62, v22, v3 offset1:1
	ds_store_2addr_b32 v62, v20, v32 offset0:2 offset1:3
	ds_store_b32 v62, v21 offset:16
	ds_store_b32 v62, v33 offset:2016
	v_mul_lo_u16 v21, v19, 10
	v_add_nc_u16 v3, v10, 0x64
	v_pack_b32_f16 v27, v38, v43
	v_alignbit_b32 v20, v31, v31, 16
	v_pack_b32_f16 v22, v76, v77
	v_alignbit_b32 v23, v40, v40, 16
	v_pk_add_f16 v28, v28, v4 neg_lo:[0,1] neg_hi:[0,1]
	v_pack_b32_f16 v29, v78, v30
	v_sub_nc_u16 v21, v10, v21
	v_and_b32_e32 v4, 0xff, v3
	ds_store_2addr_b32 v58, v27, v5 offset1:1
	ds_store_2addr_b32 v63, v22, v20 offset1:1
	v_pack_b32_f16 v5, v26, v24
	v_add_nc_u32_e32 v13, 0xc8, v10
	ds_store_2addr_b32 v79, v29, v28 offset1:1
	v_and_b32_e32 v53, 0xff, v21
	ds_store_2addr_b32 v35, v25, v23 offset1:1
	ds_store_b32 v62, v5 offset:4016
	v_mul_lo_u16 v5, 0xcd, v4
	global_wb scope:SCOPE_SE
	s_wait_dscnt 0x0
	s_barrier_signal -1
	v_lshlrev_b32_e32 v21, 3, v53
	s_barrier_wait -1
	v_lshrrev_b16 v20, 11, v5
	v_and_b32_e32 v5, 0xffff, v13
	global_inv scope:SCOPE_SE
	global_load_b64 v[29:30], v21, s[4:5]
	v_add_nc_u32_e32 v24, 0x12c, v10
	v_mul_lo_u16 v21, v20, 10
	v_mul_u32_u24_e32 v22, 0xcccd, v5
	v_add_nc_u32_e32 v25, 0x190, v10
	v_add_nc_u32_e32 v38, 0x2bc, v10
	v_and_b32_e32 v23, 0xffff, v24
	v_sub_nc_u16 v21, v3, v21
	v_lshrrev_b32_e32 v22, 19, v22
	v_and_b32_e32 v27, 0xffff, v25
	v_add_nc_u32_e32 v45, 0x320, v10
	v_mul_u32_u24_e32 v23, 0xcccd, v23
	v_and_b32_e32 v58, 0xff, v21
	v_mul_lo_u16 v21, v22, 10
	v_and_b32_e32 v19, 0xffff, v19
	v_lshlrev_b32_e32 v53, 1, v53
	v_lshrrev_b32_e32 v23, 19, v23
	v_lshlrev_b32_e32 v26, 3, v58
	v_sub_nc_u16 v21, v13, v21
	v_and_b32_e32 v20, 0xffff, v20
	v_mul_u32_u24_e32 v19, 60, v19
	v_lshlrev_b32_e32 v58, 1, v58
	global_load_b64 v[31:32], v26, s[4:5]
	v_and_b32_e32 v59, 0xffff, v21
	v_mul_lo_u16 v21, v23, 10
	v_mul_u32_u24_e32 v20, 60, v20
	v_add3_u32 v19, 0, v19, v53
	v_mul_lo_u16 v1, 0x89, v1
	v_mul_lo_u16 v4, 0x89, v4
	v_sub_nc_u16 v21, v24, v21
	v_mul_u32_u24_e32 v5, 0x8889, v5
	s_delay_alu instid0(VALU_DEP_4) | instskip(NEXT) | instid1(VALU_DEP_4)
	v_lshrrev_b16 v1, 12, v1
	v_lshrrev_b16 v4, 12, v4
	s_delay_alu instid0(VALU_DEP_4) | instskip(NEXT) | instid1(VALU_DEP_4)
	v_and_b32_e32 v62, 0xffff, v21
	v_lshrrev_b32_e32 v5, 20, v5
	s_delay_alu instid0(VALU_DEP_2)
	v_lshlrev_b32_e32 v28, 3, v62
	v_lshlrev_b32_e32 v62, 1, v62
	global_load_b64 v[35:36], v28, s[4:5]
	v_mul_u32_u24_e32 v26, 0xcccd, v27
	v_lshlrev_b32_e32 v27, 3, v59
	v_lshlrev_b32_e32 v59, 1, v59
	s_delay_alu instid0(VALU_DEP_3) | instskip(SKIP_4) | instid1(VALU_DEP_2)
	v_lshrrev_b32_e32 v24, 19, v26
	v_add_nc_u32_e32 v26, 0x1f4, v10
	global_load_b64 v[33:34], v27, s[4:5]
	v_mul_lo_u16 v21, v24, 10
	v_and_b32_e32 v27, 0xffff, v26
	v_sub_nc_u16 v21, v25, v21
	s_delay_alu instid0(VALU_DEP_2) | instskip(NEXT) | instid1(VALU_DEP_2)
	v_mul_u32_u24_e32 v25, 0xcccd, v27
	v_and_b32_e32 v63, 0xffff, v21
	v_add_nc_u32_e32 v21, 0x258, v10
	s_delay_alu instid0(VALU_DEP_3) | instskip(NEXT) | instid1(VALU_DEP_3)
	v_lshrrev_b32_e32 v25, 19, v25
	v_lshlrev_b32_e32 v27, 3, v63
	s_delay_alu instid0(VALU_DEP_3) | instskip(NEXT) | instid1(VALU_DEP_3)
	v_and_b32_e32 v28, 0xffff, v21
	v_mul_lo_u16 v37, v25, 10
	v_lshlrev_b32_e32 v63, 1, v63
	global_load_b64 v[39:40], v27, s[4:5]
	v_mul_u32_u24_e32 v27, 0xcccd, v28
	v_sub_nc_u16 v26, v26, v37
	v_and_b32_e32 v37, 0xffff, v38
	s_delay_alu instid0(VALU_DEP_3) | instskip(NEXT) | instid1(VALU_DEP_3)
	v_lshrrev_b32_e32 v28, 19, v27
	v_and_b32_e32 v76, 0xffff, v26
	s_delay_alu instid0(VALU_DEP_3) | instskip(NEXT) | instid1(VALU_DEP_3)
	v_mul_u32_u24_e32 v26, 0xcccd, v37
	v_mul_lo_u16 v37, v28, 10
	s_delay_alu instid0(VALU_DEP_3) | instskip(NEXT) | instid1(VALU_DEP_3)
	v_lshlrev_b32_e32 v41, 3, v76
	v_lshrrev_b32_e32 v27, 19, v26
	v_and_b32_e32 v26, 0xffff, v45
	v_lshlrev_b32_e32 v76, 1, v76
	v_sub_nc_u16 v21, v21, v37
	global_load_b64 v[41:42], v41, s[4:5]
	v_mul_lo_u16 v37, v27, 10
	v_mul_u32_u24_e32 v26, 0xcccd, v26
	v_and_b32_e32 v77, 0xffff, v21
	v_add_nc_u32_e32 v21, 0x384, v10
	s_delay_alu instid0(VALU_DEP_4) | instskip(NEXT) | instid1(VALU_DEP_4)
	v_sub_nc_u16 v38, v38, v37
	v_lshrrev_b32_e32 v37, 19, v26
	s_delay_alu instid0(VALU_DEP_4) | instskip(NEXT) | instid1(VALU_DEP_4)
	v_lshlrev_b32_e32 v43, 3, v77
	v_and_b32_e32 v46, 0xffff, v21
	s_delay_alu instid0(VALU_DEP_4)
	v_and_b32_e32 v78, 0xffff, v38
	v_lshlrev_b32_e32 v77, 1, v77
	global_load_b64 v[43:44], v43, s[4:5]
	v_mul_u32_u24_e32 v26, 0xcccd, v46
	v_mul_lo_u16 v46, v37, 10
	v_lshlrev_b32_e32 v47, 3, v78
	v_lshlrev_b32_e32 v78, 1, v78
	s_delay_alu instid0(VALU_DEP_4) | instskip(NEXT) | instid1(VALU_DEP_4)
	v_lshrrev_b32_e32 v38, 19, v26
	v_sub_nc_u16 v26, v45, v46
	global_load_b64 v[45:46], v47, s[4:5]
	v_mul_lo_u16 v47, v38, 10
	v_and_b32_e32 v79, 0xffff, v26
	s_delay_alu instid0(VALU_DEP_2) | instskip(NEXT) | instid1(VALU_DEP_2)
	v_sub_nc_u16 v21, v21, v47
	v_lshlrev_b32_e32 v26, 3, v79
	v_lshlrev_b32_e32 v79, 1, v79
	s_delay_alu instid0(VALU_DEP_3)
	v_and_b32_e32 v80, 0xffff, v21
	global_load_b64 v[47:48], v26, s[4:5]
	v_lshlrev_b32_e32 v21, 3, v80
	v_lshlrev_b32_e32 v80, 1, v80
	global_load_b64 v[49:50], v21, s[4:5]
	ds_load_u16 v26, v14 offset:2000
	ds_load_u16 v81, v14 offset:4000
	;; [unrolled: 1-line block ×11, first 2 shown]
	s_wait_loadcnt 0x9
	v_lshrrev_b32_e32 v82, 16, v29
	v_lshrrev_b32_e32 v88, 16, v30
	s_wait_dscnt 0xa
	s_delay_alu instid0(VALU_DEP_2) | instskip(SKIP_1) | instid1(VALU_DEP_2)
	v_mul_f16_e32 v89, v26, v82
	v_mul_f16_e32 v82, v67, v82
	v_fma_f16 v67, v67, v29, -v89
	s_delay_alu instid0(VALU_DEP_2)
	v_fmac_f16_e32 v82, v26, v29
	s_wait_dscnt 0x9
	v_mul_f16_e32 v26, v81, v88
	v_mul_f16_e32 v88, v68, v88
	ds_load_u16 v89, v14 offset:3800
	v_fma_f16 v68, v68, v30, -v26
	v_fmac_f16_e32 v88, v81, v30
	s_wait_loadcnt 0x8
	v_lshrrev_b32_e32 v26, 16, v31
	v_lshrrev_b32_e32 v29, 16, v32
	s_wait_dscnt 0x9
	s_delay_alu instid0(VALU_DEP_2) | instskip(SKIP_3) | instid1(VALU_DEP_3)
	v_mul_f16_e32 v30, v83, v26
	v_mul_f16_e32 v81, v55, v26
	s_wait_dscnt 0x3
	v_mul_f16_e32 v26, v90, v29
	v_fma_f16 v55, v55, v31, -v30
	s_delay_alu instid0(VALU_DEP_3) | instskip(SKIP_3) | instid1(VALU_DEP_1)
	v_fmac_f16_e32 v81, v83, v31
	ds_load_u16 v31, v14 offset:4800
	v_fma_f16 v83, v51, v32, -v26
	v_mul_f16_e32 v51, v51, v29
	v_fmac_f16_e32 v51, v90, v32
	s_wait_loadcnt 0x6
	v_lshrrev_b32_e32 v30, 16, v33
	v_lshrrev_b32_e32 v26, 16, v34
	s_delay_alu instid0(VALU_DEP_2) | instskip(SKIP_2) | instid1(VALU_DEP_3)
	v_mul_f16_e32 v29, v84, v30
	v_mul_f16_e32 v93, v56, v30
	s_wait_dscnt 0x3
	v_mul_f16_e32 v30, v91, v26
	s_delay_alu instid0(VALU_DEP_3)
	v_fma_f16 v56, v56, v33, -v29
	v_lshrrev_b32_e32 v29, 16, v35
	v_fmac_f16_e32 v93, v84, v33
	v_mul_f16_e32 v84, v52, v26
	v_lshrrev_b32_e32 v26, 16, v36
	v_fma_f16 v52, v52, v34, -v30
	v_mul_f16_e32 v30, v85, v29
	v_mul_f16_e32 v90, v57, v29
	v_fmac_f16_e32 v84, v91, v34
	s_wait_dscnt 0x2
	v_mul_f16_e32 v29, v92, v26
	v_mul_f16_e32 v91, v54, v26
	v_fma_f16 v57, v57, v35, -v30
	v_fmac_f16_e32 v90, v85, v35
	s_wait_loadcnt 0x5
	v_lshrrev_b32_e32 v26, 16, v39
	v_fma_f16 v54, v54, v36, -v29
	v_lshrrev_b32_e32 v29, 16, v40
	v_fmac_f16_e32 v91, v92, v36
	s_delay_alu instid0(VALU_DEP_4)
	v_mul_f16_e32 v30, v86, v26
	v_mul_f16_e32 v85, v60, v26
	ds_load_u16 v26, v14 offset:5000
	ds_load_u16 v32, v14 offset:5200
	;; [unrolled: 1-line block ×6, first 2 shown]
	v_fma_f16 v60, v60, v39, -v30
	v_fmac_f16_e32 v85, v86, v39
	s_wait_dscnt 0x6
	v_mul_f16_e32 v30, v31, v29
	v_mul_f16_e32 v39, v70, v29
	ds_load_u16 v29, v14 offset:3200
	s_wait_loadcnt 0x4
	v_lshrrev_b32_e32 v35, 16, v41
	v_fma_f16 v70, v70, v40, -v30
	v_fmac_f16_e32 v39, v31, v40
	v_lshrrev_b32_e32 v31, 16, v42
	s_delay_alu instid0(VALU_DEP_4)
	v_mul_f16_e32 v30, v87, v35
	v_mul_f16_e32 v40, v61, v35
	ds_load_u16 v35, v14 offset:3400
	v_fma_f16 v61, v61, v41, -v30
	s_wait_dscnt 0x7
	v_mul_f16_e32 v30, v26, v31
	v_fmac_f16_e32 v40, v87, v41
	v_mul_f16_e32 v41, v71, v31
	s_wait_loadcnt 0x3
	v_lshrrev_b32_e32 v31, 16, v43
	v_fma_f16 v71, v71, v42, -v30
	v_lshrrev_b32_e32 v30, 16, v44
	v_fmac_f16_e32 v41, v26, v42
	s_wait_dscnt 0x1
	v_mul_f16_e32 v26, v29, v31
	v_mul_f16_e32 v42, v64, v31
	s_wait_loadcnt 0x2
	v_lshrrev_b32_e32 v86, 16, v45
	v_mul_f16_e32 v31, v32, v30
	v_fma_f16 v64, v64, v43, -v26
	ds_load_u16 v26, v14 offset:1600
	v_fmac_f16_e32 v42, v29, v43
	v_mul_f16_e32 v43, v72, v30
	s_wait_dscnt 0x1
	v_mul_f16_e32 v29, v35, v86
	v_lshrrev_b32_e32 v30, 16, v46
	v_fma_f16 v72, v72, v44, -v31
	v_fmac_f16_e32 v43, v32, v44
	v_mul_f16_e32 v44, v65, v86
	v_fma_f16 v65, v65, v45, -v29
	v_mul_f16_e32 v29, v33, v30
	v_mul_f16_e32 v86, v73, v30
	s_wait_loadcnt 0x1
	v_lshrrev_b32_e32 v30, 16, v47
	v_lshrrev_b32_e32 v31, 16, v48
	v_fmac_f16_e32 v44, v35, v45
	v_fma_f16 v45, v73, v46, -v29
	v_fmac_f16_e32 v86, v33, v46
	v_mul_f16_e32 v29, v36, v30
	v_mul_f16_e32 v46, v66, v30
	v_mul_f16_e32 v30, v34, v31
	v_mul_f16_e32 v73, v74, v31
	s_wait_loadcnt 0x0
	v_lshrrev_b32_e32 v87, 16, v49
	v_fma_f16 v66, v66, v47, -v29
	v_fmac_f16_e32 v46, v36, v47
	v_fma_f16 v47, v74, v48, -v30
	v_fmac_f16_e32 v73, v34, v48
	v_mul_f16_e32 v48, v89, v87
	v_lshrrev_b32_e32 v74, 16, v50
	ds_load_u16 v36, v14
	ds_load_u16 v35, v14 offset:200
	ds_load_u16 v34, v14 offset:400
	;; [unrolled: 1-line block ×7, first 2 shown]
	global_wb scope:SCOPE_SE
	s_wait_dscnt 0x0
	s_barrier_signal -1
	v_fma_f16 v48, v69, v49, -v48
	v_mul_f16_e32 v69, v69, v87
	v_add_f16_e32 v87, v82, v88
	s_barrier_wait -1
	global_inv scope:SCOPE_SE
	v_fmac_f16_e32 v69, v89, v49
	v_mul_f16_e32 v49, v92, v74
	v_mul_f16_e32 v74, v75, v74
	s_delay_alu instid0(VALU_DEP_2) | instskip(SKIP_1) | instid1(VALU_DEP_3)
	v_fma_f16 v49, v75, v50, -v49
	v_add_f16_e32 v75, v67, v68
	v_fmac_f16_e32 v74, v92, v50
	v_add_f16_e32 v50, v18, v67
	v_sub_f16_e32 v67, v67, v68
	v_add_f16_e32 v92, v34, v93
	v_fmac_f16_e32 v18, -0.5, v75
	v_sub_f16_e32 v75, v82, v88
	v_add_f16_e32 v82, v36, v82
	v_add_f16_e32 v50, v50, v68
	v_fmac_f16_e32 v36, -0.5, v87
	s_delay_alu instid0(VALU_DEP_4)
	v_fmamk_f16 v89, v75, 0x3aee, v18
	v_fmac_f16_e32 v18, 0xbaee, v75
	v_add_f16_e32 v75, v55, v83
	v_add_f16_e32 v68, v82, v88
	;; [unrolled: 1-line block ×3, first 2 shown]
	v_fmamk_f16 v87, v67, 0xbaee, v36
	v_fmac_f16_e32 v36, 0x3aee, v67
	v_fmac_f16_e32 v17, -0.5, v75
	v_sub_f16_e32 v75, v81, v51
	v_add_f16_e32 v67, v82, v83
	v_add_f16_e32 v82, v81, v51
	;; [unrolled: 1-line block ×3, first 2 shown]
	v_sub_f16_e32 v55, v55, v83
	v_fmamk_f16 v88, v75, 0x3aee, v17
	v_fmac_f16_e32 v17, 0xbaee, v75
	v_add_f16_e32 v75, v56, v52
	v_fmac_f16_e32 v35, -0.5, v82
	v_add_f16_e32 v51, v81, v51
	v_add_f16_e32 v81, v16, v56
	ds_store_b16 v19, v50
	ds_store_b16 v19, v89 offset:20
	ds_store_b16 v19, v18 offset:40
	v_fmac_f16_e32 v16, -0.5, v75
	v_sub_f16_e32 v75, v93, v84
	v_fmamk_f16 v82, v55, 0xbaee, v35
	v_fmac_f16_e32 v35, 0x3aee, v55
	v_add_f16_e32 v55, v81, v52
	v_add_f16_e32 v81, v93, v84
	v_fmamk_f16 v83, v75, 0x3aee, v16
	v_fmac_f16_e32 v16, 0xbaee, v75
	v_add_f16_e32 v75, v57, v54
	v_sub_f16_e32 v52, v56, v52
	v_fmac_f16_e32 v34, -0.5, v81
	v_add_f16_e32 v81, v15, v57
	v_add_f16_e32 v56, v92, v84
	v_fmac_f16_e32 v15, -0.5, v75
	v_sub_f16_e32 v75, v90, v91
	v_fmamk_f16 v84, v52, 0xbaee, v34
	v_fmac_f16_e32 v34, 0x3aee, v52
	v_add_f16_e32 v52, v81, v54
	v_add_f16_e32 v81, v90, v91
	v_fmamk_f16 v92, v75, 0x3aee, v15
	v_add_f16_e32 v90, v33, v90
	v_fmac_f16_e32 v15, 0xbaee, v75
	v_add_f16_e32 v75, v60, v70
	v_fmac_f16_e32 v33, -0.5, v81
	v_sub_f16_e32 v54, v57, v54
	v_add_f16_e32 v81, v12, v60
	v_add_f16_e32 v57, v90, v91
	v_fmac_f16_e32 v12, -0.5, v75
	v_sub_f16_e32 v75, v85, v39
	v_fmamk_f16 v90, v54, 0xbaee, v33
	v_fmac_f16_e32 v33, 0x3aee, v54
	v_add_f16_e32 v54, v81, v70
	v_add_f16_e32 v81, v85, v39
	v_fmamk_f16 v91, v75, 0x3aee, v12
	v_add_f16_e32 v85, v32, v85
	v_fmac_f16_e32 v12, 0xbaee, v75
	v_add_f16_e32 v75, v61, v71
	v_fmac_f16_e32 v32, -0.5, v81
	v_sub_f16_e32 v60, v60, v70
	;; [unrolled: 14-line block ×3, first 2 shown]
	v_add_f16_e32 v40, v40, v41
	v_add_f16_e32 v41, v6, v64
	v_fmac_f16_e32 v6, -0.5, v75
	v_sub_f16_e32 v70, v42, v43
	v_fmamk_f16 v71, v61, 0xbaee, v31
	v_fmac_f16_e32 v31, 0x3aee, v61
	v_add_f16_e32 v61, v42, v43
	v_add_f16_e32 v42, v30, v42
	v_fmamk_f16 v75, v70, 0x3aee, v6
	v_fmac_f16_e32 v6, 0xbaee, v70
	v_add_f16_e32 v70, v65, v45
	v_fmac_f16_e32 v30, -0.5, v61
	v_sub_f16_e32 v61, v64, v72
	v_add_f16_e32 v42, v42, v43
	v_add_f16_e32 v43, v0, v65
	v_fmac_f16_e32 v0, -0.5, v70
	v_sub_f16_e32 v64, v44, v86
	v_fmamk_f16 v70, v61, 0xbaee, v30
	v_fmac_f16_e32 v30, 0x3aee, v61
	v_add_f16_e32 v61, v44, v86
	v_add_f16_e32 v41, v41, v72
	;; [unrolled: 1-line block ×3, first 2 shown]
	v_fmamk_f16 v72, v64, 0x3aee, v0
	v_add_f16_e32 v44, v29, v44
	v_fmac_f16_e32 v0, 0xbaee, v64
	v_add_f16_e32 v64, v66, v47
	v_fmac_f16_e32 v29, -0.5, v61
	v_sub_f16_e32 v45, v65, v45
	v_add_f16_e32 v61, v2, v66
	v_add_f16_e32 v44, v44, v86
	v_fmac_f16_e32 v2, -0.5, v64
	v_sub_f16_e32 v64, v46, v73
	v_fmamk_f16 v65, v45, 0xbaee, v29
	v_fmac_f16_e32 v29, 0x3aee, v45
	v_add_f16_e32 v45, v61, v47
	v_add_f16_e32 v61, v46, v73
	;; [unrolled: 1-line block ×3, first 2 shown]
	v_fmamk_f16 v86, v64, 0x3aee, v2
	v_fmac_f16_e32 v2, 0xbaee, v64
	v_add_f16_e32 v64, v48, v49
	v_fmac_f16_e32 v26, -0.5, v61
	v_add_f16_e32 v46, v46, v73
	v_add_f16_e32 v73, v69, v74
	v_sub_f16_e32 v47, v66, v47
	v_add_f16_e32 v61, v7, v48
	v_fmac_f16_e32 v7, -0.5, v64
	v_sub_f16_e32 v64, v69, v74
	v_add_f16_e32 v69, v21, v69
	v_fmac_f16_e32 v21, -0.5, v73
	v_sub_f16_e32 v48, v48, v49
	v_fmamk_f16 v66, v47, 0xbaee, v26
	v_fmac_f16_e32 v26, 0x3aee, v47
	v_add_f16_e32 v47, v61, v49
	v_fmamk_f16 v61, v64, 0x3aee, v7
	v_fmac_f16_e32 v7, 0xbaee, v64
	v_fmamk_f16 v64, v48, 0xbaee, v21
	v_fmac_f16_e32 v21, 0x3aee, v48
	v_add3_u32 v48, 0, v20, v58
	v_mul_u32_u24_e32 v20, 60, v22
	v_mul_u32_u24_e32 v18, 60, v23
	ds_store_b16 v48, v67
	ds_store_b16 v48, v88 offset:20
	ds_store_b16 v48, v17 offset:40
	v_add3_u32 v22, 0, v20, v59
	v_add3_u32 v17, 0, v18, v62
	v_mul_u32_u24_e32 v18, 60, v24
	ds_store_b16 v22, v55
	ds_store_b16 v22, v83 offset:20
	ds_store_b16 v22, v16 offset:40
	v_mul_u32_u24_e32 v16, 60, v25
	v_add3_u32 v18, 0, v18, v63
	ds_store_b16 v17, v52
	ds_store_b16 v17, v92 offset:20
	ds_store_b16 v17, v15 offset:40
	ds_store_b16 v18, v54
	ds_store_b16 v18, v91 offset:20
	ds_store_b16 v18, v12 offset:40
	v_add3_u32 v15, 0, v16, v76
	v_mul_u32_u24_e32 v16, 60, v28
	v_mul_u32_u24_e32 v12, 60, v27
	ds_store_b16 v15, v60
	ds_store_b16 v15, v85 offset:20
	ds_store_b16 v15, v11 offset:40
	v_add3_u32 v16, 0, v16, v77
	v_add3_u32 v11, 0, v12, v78
	v_mul_u32_u24_e32 v12, 60, v37
	v_mul_u32_u24_e32 v20, 60, v38
	ds_store_b16 v16, v41
	ds_store_b16 v16, v75 offset:20
	ds_store_b16 v16, v6 offset:40
	v_add_f16_e32 v49, v69, v74
	v_add3_u32 v6, 0, v12, v79
	v_add3_u32 v12, 0, v20, v80
	ds_store_b16 v11, v43
	ds_store_b16 v11, v72 offset:20
	ds_store_b16 v11, v0 offset:40
	ds_store_b16 v6, v45
	ds_store_b16 v6, v86 offset:20
	ds_store_b16 v6, v2 offset:40
	;; [unrolled: 3-line block ×3, first 2 shown]
	v_mul_lo_u16 v2, v1, 30
	global_wb scope:SCOPE_SE
	s_wait_dscnt 0x0
	s_barrier_signal -1
	s_barrier_wait -1
	global_inv scope:SCOPE_SE
	v_sub_nc_u16 v2, v10, v2
	ds_load_u16 v20, v14
	ds_load_u16 v7, v14 offset:200
	ds_load_u16 v38, v14 offset:800
	;; [unrolled: 1-line block ×29, first 2 shown]
	global_wb scope:SCOPE_SE
	s_wait_dscnt 0x0
	s_barrier_signal -1
	s_barrier_wait -1
	v_and_b32_e32 v2, 0xff, v2
	global_inv scope:SCOPE_SE
	ds_store_b16 v19, v68
	ds_store_b16 v19, v87 offset:20
	ds_store_b16 v19, v36 offset:40
	ds_store_b16 v48, v51
	ds_store_b16 v48, v82 offset:20
	ds_store_b16 v48, v35 offset:40
	;; [unrolled: 3-line block ×8, first 2 shown]
	v_mul_u32_u24_e32 v11, 9, v2
	ds_store_b16 v6, v46
	ds_store_b16 v6, v66 offset:20
	ds_store_b16 v6, v26 offset:40
	ds_store_b16 v12, v49
	ds_store_b16 v12, v64 offset:20
	ds_store_b16 v12, v21 offset:40
	global_wb scope:SCOPE_SE
	s_wait_dscnt 0x0
	s_barrier_signal -1
	s_barrier_wait -1
	v_lshlrev_b32_e32 v6, 2, v11
	global_inv scope:SCOPE_SE
	s_clause 0x1
	global_load_b128 v[15:18], v6, s[4:5] offset:80
	global_load_b128 v[21:24], v6, s[4:5] offset:96
	v_mul_lo_u16 v11, v4, 30
	global_load_b32 v12, v6, s[4:5] offset:112
	v_and_b32_e32 v1, 0xffff, v1
	v_and_b32_e32 v4, 0xffff, v4
	v_lshlrev_b32_e32 v2, 1, v2
	v_sub_nc_u16 v3, v3, v11
	s_delay_alu instid0(VALU_DEP_4) | instskip(NEXT) | instid1(VALU_DEP_4)
	v_mul_u32_u24_e32 v1, 0x258, v1
	v_mul_u32_u24_e32 v4, 0x258, v4
	s_delay_alu instid0(VALU_DEP_3) | instskip(NEXT) | instid1(VALU_DEP_3)
	v_and_b32_e32 v3, 0xff, v3
	v_add3_u32 v1, 0, v1, v2
	s_delay_alu instid0(VALU_DEP_2) | instskip(SKIP_1) | instid1(VALU_DEP_2)
	v_mul_u32_u24_e32 v11, 9, v3
	v_lshlrev_b32_e32 v3, 1, v3
	v_lshlrev_b32_e32 v11, 2, v11
	s_delay_alu instid0(VALU_DEP_2)
	v_add3_u32 v2, 0, v4, v3
	v_mul_u32_u24_e32 v3, 0x258, v5
	global_load_b128 v[25:28], v11, s[4:5] offset:80
	v_mul_lo_u16 v6, v5, 30
	s_clause 0x1
	global_load_b128 v[30:33], v11, s[4:5] offset:96
	global_load_b32 v44, v11, s[4:5] offset:112
	v_sub_nc_u16 v6, v13, v6
	s_delay_alu instid0(VALU_DEP_1) | instskip(NEXT) | instid1(VALU_DEP_1)
	v_and_b32_e32 v6, 0xffff, v6
	v_mul_u32_u24_e32 v19, 9, v6
	v_lshlrev_b32_e32 v4, 1, v6
	s_delay_alu instid0(VALU_DEP_2)
	v_lshlrev_b32_e32 v11, 2, v19
	s_clause 0x2
	global_load_b128 v[34:37], v11, s[4:5] offset:80
	global_load_b128 v[40:43], v11, s[4:5] offset:96
	global_load_b32 v46, v11, s[4:5] offset:112
	ds_load_u16 v19, v14 offset:600
	ds_load_u16 v29, v14 offset:800
	;; [unrolled: 1-line block ×20, first 2 shown]
	v_add3_u32 v3, 0, v3, v4
	s_wait_loadcnt 0x8
	v_lshrrev_b32_e32 v81, 16, v15
	v_lshrrev_b32_e32 v87, 16, v16
	;; [unrolled: 1-line block ×4, first 2 shown]
	s_wait_dscnt 0x13
	v_mul_f16_e32 v88, v19, v81
	v_mul_f16_e32 v81, v59, v81
	s_delay_alu instid0(VALU_DEP_2)
	v_fma_f16 v88, v59, v15, -v88
	s_wait_dscnt 0x11
	v_mul_f16_e32 v59, v39, v87
	v_mul_f16_e32 v87, v58, v87
	v_fmac_f16_e32 v81, v19, v15
	s_wait_dscnt 0xf
	v_mul_f16_e32 v15, v49, v91
	v_mul_f16_e32 v91, v62, v91
	v_fma_f16 v93, v58, v16, -v59
	v_fmac_f16_e32 v87, v39, v16
	ds_load_u16 v16, v14 offset:4200
	v_fma_f16 v94, v62, v17, -v15
	s_wait_dscnt 0x5
	v_mul_f16_e32 v15, v82, v92
	v_mul_f16_e32 v92, v61, v92
	v_fmac_f16_e32 v91, v49, v17
	s_wait_loadcnt 0x7
	v_lshrrev_b32_e32 v17, 16, v21
	v_lshrrev_b32_e32 v39, 16, v23
	v_fma_f16 v49, v61, v18, -v15
	v_lshrrev_b32_e32 v15, 16, v22
	v_fmac_f16_e32 v92, v82, v18
	v_mul_f16_e32 v19, v70, v17
	v_mul_f16_e32 v82, v60, v17
	v_lshrrev_b32_e32 v58, 16, v24
	v_mul_f16_e32 v17, v56, v15
	v_mul_f16_e32 v97, v77, v15
	ds_load_u16 v18, v14 offset:3400
	v_fmac_f16_e32 v82, v70, v21
	v_fma_f16 v96, v60, v21, -v19
	v_fma_f16 v70, v77, v22, -v17
	ds_load_u16 v17, v14 offset:5400
	ds_load_u16 v95, v14 offset:4000
	s_wait_dscnt 0x3
	v_mul_f16_e32 v15, v16, v39
	v_mul_f16_e32 v77, v75, v39
	v_fmac_f16_e32 v97, v56, v22
	ds_load_u16 v19, v14 offset:5600
	ds_load_u16 v98, v14 offset:5800
	;; [unrolled: 1-line block ×4, first 2 shown]
	v_fma_f16 v75, v75, v23, -v15
	v_mul_f16_e32 v15, v65, v58
	v_fmac_f16_e32 v77, v16, v23
	s_wait_loadcnt 0x5
	v_lshrrev_b32_e32 v23, 16, v26
	s_delay_alu instid0(VALU_DEP_3) | instskip(SKIP_2) | instid1(VALU_DEP_4)
	v_fma_f16 v99, v54, v24, -v15
	v_mul_f16_e32 v54, v54, v58
	v_lshrrev_b32_e32 v15, 16, v12
	v_mul_f16_e32 v101, v45, v23
	s_delay_alu instid0(VALU_DEP_3) | instskip(SKIP_1) | instid1(VALU_DEP_3)
	v_fmac_f16_e32 v54, v65, v24
	s_wait_dscnt 0x5
	v_mul_f16_e32 v16, v17, v15
	v_mul_f16_e32 v65, v83, v15
	v_lshrrev_b32_e32 v15, 16, v25
	v_fmac_f16_e32 v101, v48, v26
	s_wait_loadcnt 0x1
	v_lshrrev_b32_e32 v24, 16, v41
	v_fma_f16 v83, v83, v12, -v16
	v_fmac_f16_e32 v65, v17, v12
	v_mul_f16_e32 v12, v29, v15
	v_mul_f16_e32 v39, v38, v15
	;; [unrolled: 1-line block ×3, first 2 shown]
	v_lshrrev_b32_e32 v16, 16, v27
	v_lshrrev_b32_e32 v17, 16, v28
	v_fma_f16 v38, v38, v25, -v12
	v_lshrrev_b32_e32 v23, 16, v33
	v_fma_f16 v100, v45, v26, -v15
	v_mul_f16_e32 v12, v51, v16
	v_mul_f16_e32 v15, v57, v17
	;; [unrolled: 1-line block ×4, first 2 shown]
	v_lshrrev_b32_e32 v16, 16, v32
	v_fma_f16 v59, v47, v27, -v12
	v_lshrrev_b32_e32 v12, 16, v30
	v_fma_f16 v104, v50, v28, -v15
	v_lshrrev_b32_e32 v15, 16, v31
	v_fmac_f16_e32 v103, v57, v28
	v_mul_f16_e32 v58, v73, v16
	s_wait_dscnt 0x0
	v_mul_f16_e32 v17, v21, v12
	v_mul_f16_e32 v57, v52, v12
	;; [unrolled: 1-line block ×4, first 2 shown]
	v_lshrrev_b32_e32 v15, 16, v44
	v_fma_f16 v60, v52, v30, -v17
	v_fmac_f16_e32 v57, v21, v30
	v_fma_f16 v106, v53, v31, -v12
	v_mul_f16_e32 v12, v89, v16
	v_mul_f16_e32 v16, v66, v23
	v_fmac_f16_e32 v105, v64, v31
	v_mul_f16_e32 v64, v55, v23
	v_lshrrev_b32_e32 v21, 16, v37
	v_fma_f16 v61, v73, v32, -v12
	v_mul_f16_e32 v12, v19, v15
	v_fma_f16 v73, v55, v33, -v16
	v_mul_f16_e32 v55, v79, v15
	v_lshrrev_b32_e32 v15, 16, v34
	v_lshrrev_b32_e32 v16, 16, v36
	v_fma_f16 v62, v79, v44, -v12
	v_lshrrev_b32_e32 v12, 16, v35
	v_mul_f16_e32 v23, v71, v21
	v_mul_f16_e32 v17, v68, v15
	;; [unrolled: 1-line block ×3, first 2 shown]
	v_lshrrev_b32_e32 v21, 16, v40
	v_fmac_f16_e32 v39, v29, v25
	v_fmac_f16_e32 v55, v19, v44
	v_mul_f16_e32 v19, v86, v12
	v_mul_f16_e32 v25, v72, v12
	v_fma_f16 v12, v63, v34, -v17
	v_mul_f16_e32 v17, v84, v16
	v_fma_f16 v28, v67, v37, -v23
	v_mul_f16_e32 v23, v18, v21
	v_lshrrev_b32_e32 v31, 16, v42
	ds_load_u16 v102, v14
	ds_load_u16 v29, v14 offset:200
	v_fmac_f16_e32 v56, v51, v27
	v_fmac_f16_e32 v58, v89, v32
	v_mul_f16_e32 v15, v63, v15
	v_fma_f16 v30, v72, v35, -v19
	v_mul_f16_e32 v16, v69, v16
	v_fma_f16 v19, v69, v36, -v17
	v_lshrrev_b32_e32 v32, 16, v43
	v_mul_f16_e32 v17, v78, v21
	v_fma_f16 v21, v78, v40, -v23
	v_mul_f16_e32 v23, v95, v24
	v_mul_f16_e32 v27, v76, v24
	;; [unrolled: 1-line block ×3, first 2 shown]
	v_fmac_f16_e32 v64, v66, v33
	v_fmac_f16_e32 v15, v68, v34
	;; [unrolled: 1-line block ×4, first 2 shown]
	v_mul_f16_e32 v18, v74, v31
	v_fma_f16 v31, v76, v41, -v23
	v_fma_f16 v23, v74, v42, -v24
	s_wait_loadcnt 0x0
	v_lshrrev_b32_e32 v33, 16, v46
	v_add_f16_e32 v24, v49, v70
	v_mul_f16_e32 v34, v22, v32
	v_add_f16_e32 v36, v20, v93
	v_fmac_f16_e32 v25, v86, v35
	v_fmac_f16_e32 v26, v71, v37
	;; [unrolled: 1-line block ×3, first 2 shown]
	v_mul_f16_e32 v32, v85, v32
	v_mul_f16_e32 v35, v98, v33
	v_fma_f16 v50, -0.5, v24, v20
	v_sub_f16_e32 v37, v87, v54
	v_fma_f16 v47, v85, v43, -v34
	v_add_f16_e32 v34, v36, v49
	v_add_f16_e32 v41, v93, v99
	v_fmac_f16_e32 v32, v22, v43
	v_fma_f16 v24, v80, v46, -v35
	v_fmamk_f16 v48, v37, 0x3b9c, v50
	v_sub_f16_e32 v35, v92, v97
	v_sub_f16_e32 v36, v93, v49
	;; [unrolled: 1-line block ×3, first 2 shown]
	v_mul_f16_e32 v22, v80, v33
	v_add_f16_e32 v33, v34, v70
	v_fmac_f16_e32 v20, -0.5, v41
	v_fmac_f16_e32 v50, 0xbb9c, v37
	s_wait_dscnt 0x1
	v_add_f16_e32 v41, v102, v87
	v_fmac_f16_e32 v18, v90, v42
	v_fmac_f16_e32 v48, 0x38b4, v35
	v_add_f16_e32 v34, v36, v40
	v_add_f16_e32 v40, v33, v99
	v_fmamk_f16 v51, v35, 0xbb9c, v20
	v_sub_f16_e32 v33, v49, v93
	v_sub_f16_e32 v36, v70, v99
	v_fmac_f16_e32 v50, 0xb8b4, v35
	v_add_f16_e32 v42, v92, v97
	v_fmac_f16_e32 v20, 0x3b9c, v35
	v_add_f16_e32 v35, v41, v92
	v_fmac_f16_e32 v48, 0x34f2, v34
	v_fmac_f16_e32 v51, 0x38b4, v37
	v_add_f16_e32 v33, v33, v36
	v_fma_f16 v63, -0.5, v42, v102
	v_sub_f16_e32 v36, v93, v99
	v_fmac_f16_e32 v50, 0x34f2, v34
	v_fmac_f16_e32 v20, 0xb8b4, v37
	v_add_f16_e32 v34, v35, v97
	v_add_f16_e32 v35, v87, v54
	v_sub_f16_e32 v41, v87, v92
	v_sub_f16_e32 v42, v54, v97
	v_fmac_f16_e32 v51, 0x34f2, v33
	v_fmamk_f16 v52, v36, 0xbb9c, v63
	v_sub_f16_e32 v37, v49, v70
	v_fmac_f16_e32 v20, 0x34f2, v33
	v_fmac_f16_e32 v102, -0.5, v35
	v_add_f16_e32 v53, v34, v54
	v_add_f16_e32 v33, v41, v42
	v_fmac_f16_e32 v63, 0x3b9c, v36
	v_sub_f16_e32 v34, v92, v87
	v_sub_f16_e32 v35, v97, v54
	v_add_f16_e32 v41, v88, v94
	v_fmac_f16_e32 v52, 0xb8b4, v37
	v_fmamk_f16 v66, v37, 0x3b9c, v102
	v_fmac_f16_e32 v63, 0x38b4, v37
	v_add_f16_e32 v34, v34, v35
	v_fmac_f16_e32 v102, 0xbb9c, v37
	v_add_f16_e32 v35, v41, v96
	v_add_f16_e32 v37, v96, v75
	v_fmac_f16_e32 v52, 0x34f2, v33
	v_fmac_f16_e32 v66, 0xb8b4, v36
	;; [unrolled: 1-line block ×4, first 2 shown]
	v_add_f16_e32 v33, v35, v75
	v_fma_f16 v41, -0.5, v37, v88
	v_add_f16_e32 v35, v94, v83
	v_sub_f16_e32 v36, v91, v65
	v_fmac_f16_e32 v22, v98, v46
	v_fmac_f16_e32 v66, 0x34f2, v34
	;; [unrolled: 1-line block ×3, first 2 shown]
	v_add_f16_e32 v46, v33, v83
	v_sub_f16_e32 v33, v82, v77
	v_fmac_f16_e32 v88, -0.5, v35
	v_fmamk_f16 v37, v36, 0x3b9c, v41
	v_sub_f16_e32 v34, v94, v96
	v_sub_f16_e32 v35, v83, v75
	v_fmac_f16_e32 v41, 0xbb9c, v36
	v_fmamk_f16 v42, v33, 0xbb9c, v88
	v_fmac_f16_e32 v37, 0x38b4, v33
	v_sub_f16_e32 v43, v96, v94
	v_add_f16_e32 v34, v34, v35
	v_fmac_f16_e32 v41, 0xb8b4, v33
	v_sub_f16_e32 v44, v75, v83
	v_fmac_f16_e32 v88, 0x3b9c, v33
	v_add_f16_e32 v33, v82, v77
	v_fmac_f16_e32 v37, 0x34f2, v34
	v_fmac_f16_e32 v41, 0x34f2, v34
	v_add_f16_e32 v34, v91, v65
	v_fmac_f16_e32 v42, 0x38b4, v36
	v_add_f16_e32 v35, v43, v44
	v_fmac_f16_e32 v88, 0xb8b4, v36
	v_fma_f16 v43, -0.5, v33, v81
	v_sub_f16_e32 v33, v94, v83
	v_add_f16_e32 v36, v81, v91
	v_sub_f16_e32 v44, v96, v75
	v_fmac_f16_e32 v81, -0.5, v34
	v_fmac_f16_e32 v42, 0x34f2, v35
	v_fmac_f16_e32 v88, 0x34f2, v35
	v_fmamk_f16 v45, v33, 0xbb9c, v43
	v_sub_f16_e32 v34, v91, v82
	v_sub_f16_e32 v35, v65, v77
	v_fmamk_f16 v49, v44, 0x3b9c, v81
	v_sub_f16_e32 v54, v82, v91
	v_sub_f16_e32 v67, v77, v65
	v_fmac_f16_e32 v45, 0xb8b4, v44
	v_add_f16_e32 v34, v34, v35
	v_fmac_f16_e32 v49, 0xb8b4, v33
	v_fmac_f16_e32 v81, 0xbb9c, v44
	v_add_f16_e32 v35, v54, v67
	v_fmac_f16_e32 v43, 0x3b9c, v33
	;; [unrolled: 3-line block ×3, first 2 shown]
	v_fmac_f16_e32 v49, 0x34f2, v35
	v_fmac_f16_e32 v43, 0x38b4, v44
	v_mul_f16_e32 v54, 0x38b4, v45
	v_add_f16_e32 v33, v36, v77
	v_fmac_f16_e32 v81, 0x34f2, v35
	v_mul_f16_e32 v67, 0x3b9c, v49
	v_mul_f16_e32 v35, 0x34f2, v88
	v_fmac_f16_e32 v43, 0x34f2, v34
	v_fmac_f16_e32 v54, 0x3a79, v37
	v_mul_f16_e32 v44, 0x3a79, v41
	v_fmac_f16_e32 v67, 0x34f2, v42
	v_mul_f16_e32 v70, 0xb8b4, v37
	v_mul_f16_e32 v71, 0xbb9c, v42
	v_add_f16_e32 v65, v33, v65
	v_fma_f16 v68, v81, 0x3b9c, -v35
	v_add_f16_e32 v33, v40, v46
	v_add_f16_e32 v34, v48, v54
	;; [unrolled: 1-line block ×3, first 2 shown]
	v_fma_f16 v69, v43, 0x38b4, -v44
	v_mul_f16_e32 v42, 0x34f2, v81
	v_mul_f16_e32 v43, 0x3a79, v43
	v_fmac_f16_e32 v70, 0x3a79, v45
	v_fmac_f16_e32 v71, 0x34f2, v49
	v_sub_f16_e32 v40, v40, v46
	v_sub_f16_e32 v46, v48, v54
	v_add_f16_e32 v54, v104, v106
	v_sub_f16_e32 v48, v51, v67
	v_add_f16_e32 v67, v7, v100
	v_add_f16_e32 v36, v20, v68
	v_fma_f16 v72, v88, 0xbb9c, -v42
	v_fma_f16 v74, v41, 0xb8b4, -v43
	v_add_f16_e32 v42, v52, v70
	v_add_f16_e32 v43, v66, v71
	v_sub_f16_e32 v20, v20, v68
	v_fma_f16 v68, -0.5, v54, v7
	v_sub_f16_e32 v51, v52, v70
	v_sub_f16_e32 v52, v66, v71
	v_add_f16_e32 v54, v67, v104
	v_add_f16_e32 v71, v100, v73
	;; [unrolled: 1-line block ×5, first 2 shown]
	v_sub_f16_e32 v49, v50, v69
	v_sub_f16_e32 v69, v101, v64
	v_sub_f16_e32 v50, v53, v65
	v_sub_f16_e32 v66, v103, v105
	v_sub_f16_e32 v67, v100, v104
	v_sub_f16_e32 v70, v73, v106
	v_sub_f16_e32 v53, v102, v72
	v_add_f16_e32 v72, v54, v106
	v_fmac_f16_e32 v7, -0.5, v71
	v_add_f16_e32 v45, v63, v74
	v_fmamk_f16 v65, v69, 0x3b9c, v68
	v_add_f16_e32 v67, v67, v70
	v_sub_f16_e32 v54, v63, v74
	v_add_f16_e32 v63, v72, v73
	v_fmac_f16_e32 v68, 0xbb9c, v69
	v_fmamk_f16 v70, v66, 0xbb9c, v7
	v_sub_f16_e32 v71, v104, v100
	v_sub_f16_e32 v72, v106, v73
	s_wait_dscnt 0x0
	v_add_f16_e32 v74, v29, v101
	v_add_f16_e32 v75, v103, v105
	v_fmac_f16_e32 v7, 0x3b9c, v66
	v_fmac_f16_e32 v65, 0x38b4, v66
	v_fmac_f16_e32 v68, 0xb8b4, v66
	v_fmac_f16_e32 v70, 0x38b4, v69
	v_add_f16_e32 v71, v71, v72
	v_add_f16_e32 v66, v74, v103
	v_fma_f16 v72, -0.5, v75, v29
	v_sub_f16_e32 v73, v100, v73
	v_fmac_f16_e32 v7, 0xb8b4, v69
	v_add_f16_e32 v69, v101, v64
	v_sub_f16_e32 v75, v101, v103
	v_sub_f16_e32 v76, v64, v105
	v_fmac_f16_e32 v65, 0x34f2, v67
	v_fmac_f16_e32 v68, 0x34f2, v67
	v_add_f16_e32 v66, v66, v105
	v_fmamk_f16 v67, v73, 0xbb9c, v72
	v_sub_f16_e32 v74, v104, v106
	v_fmac_f16_e32 v29, -0.5, v69
	v_add_f16_e32 v69, v75, v76
	v_fmac_f16_e32 v72, 0x3b9c, v73
	v_add_f16_e32 v76, v38, v59
	v_fmac_f16_e32 v70, 0x34f2, v71
	v_fmac_f16_e32 v7, 0x34f2, v71
	v_add_f16_e32 v66, v66, v64
	v_fmac_f16_e32 v67, 0xb8b4, v74
	v_fmamk_f16 v71, v74, 0x3b9c, v29
	v_sub_f16_e32 v75, v103, v101
	v_sub_f16_e32 v64, v105, v64
	v_fmac_f16_e32 v72, 0x38b4, v74
	v_fmac_f16_e32 v29, 0xbb9c, v74
	v_add_f16_e32 v74, v76, v60
	v_fmac_f16_e32 v67, 0x34f2, v69
	v_fmac_f16_e32 v71, 0xb8b4, v73
	v_add_f16_e32 v64, v75, v64
	v_add_f16_e32 v75, v60, v61
	v_fmac_f16_e32 v72, 0x34f2, v69
	v_fmac_f16_e32 v29, 0x38b4, v73
	v_add_f16_e32 v69, v74, v61
	v_add_f16_e32 v74, v59, v62
	v_fmac_f16_e32 v71, 0x34f2, v64
	v_fma_f16 v73, -0.5, v75, v38
	v_sub_f16_e32 v75, v56, v55
	v_fmac_f16_e32 v29, 0x34f2, v64
	v_add_f16_e32 v64, v69, v62
	v_sub_f16_e32 v69, v57, v58
	v_fmac_f16_e32 v38, -0.5, v74
	v_fmamk_f16 v74, v75, 0x3b9c, v73
	v_fmac_f16_e32 v73, 0xbb9c, v75
	v_sub_f16_e32 v76, v59, v60
	v_sub_f16_e32 v77, v62, v61
	v_fmamk_f16 v78, v69, 0xbb9c, v38
	v_fmac_f16_e32 v38, 0x3b9c, v69
	v_sub_f16_e32 v79, v60, v59
	v_sub_f16_e32 v80, v61, v62
	v_fmac_f16_e32 v74, 0x38b4, v69
	v_fmac_f16_e32 v73, 0xb8b4, v69
	;; [unrolled: 1-line block ×3, first 2 shown]
	v_add_f16_e32 v69, v57, v58
	v_fmac_f16_e32 v38, 0xb8b4, v75
	v_add_f16_e32 v75, v56, v55
	v_add_f16_e32 v76, v76, v77
	;; [unrolled: 1-line block ×3, first 2 shown]
	v_fma_f16 v69, -0.5, v69, v39
	v_sub_f16_e32 v59, v59, v62
	v_add_f16_e32 v62, v39, v56
	v_sub_f16_e32 v60, v60, v61
	v_fmac_f16_e32 v39, -0.5, v75
	v_fmac_f16_e32 v74, 0x34f2, v76
	v_fmac_f16_e32 v73, 0x34f2, v76
	;; [unrolled: 1-line block ×4, first 2 shown]
	v_fmamk_f16 v61, v59, 0xbb9c, v69
	v_sub_f16_e32 v75, v56, v57
	v_sub_f16_e32 v76, v55, v58
	v_fmamk_f16 v77, v60, 0x3b9c, v39
	v_sub_f16_e32 v56, v57, v56
	v_sub_f16_e32 v79, v58, v55
	v_fmac_f16_e32 v61, 0xb8b4, v60
	v_add_f16_e32 v75, v75, v76
	v_fmac_f16_e32 v39, 0xbb9c, v60
	v_fmac_f16_e32 v77, 0xb8b4, v59
	v_add_f16_e32 v56, v56, v79
	v_add_f16_e32 v57, v62, v57
	v_fmac_f16_e32 v69, 0x3b9c, v59
	v_fmac_f16_e32 v39, 0x38b4, v59
	;; [unrolled: 1-line block ×4, first 2 shown]
	v_add_f16_e32 v57, v57, v58
	v_fmac_f16_e32 v69, 0x38b4, v60
	v_fmac_f16_e32 v39, 0x34f2, v56
	v_mul_f16_e32 v56, 0x38b4, v61
	v_mul_f16_e32 v58, 0x3b9c, v77
	;; [unrolled: 1-line block ×3, first 2 shown]
	v_add_f16_e32 v55, v57, v55
	v_fmac_f16_e32 v69, 0x34f2, v75
	v_fmac_f16_e32 v56, 0x3a79, v74
	;; [unrolled: 1-line block ×3, first 2 shown]
	v_fma_f16 v57, v39, 0x3b9c, -v59
	v_mul_f16_e32 v59, 0x3a79, v73
	v_mul_f16_e32 v74, 0xb8b4, v74
	;; [unrolled: 1-line block ×4, first 2 shown]
	v_add_f16_e32 v60, v63, v64
	v_fma_f16 v59, v69, 0x38b4, -v59
	v_mul_f16_e32 v69, 0x3a79, v69
	v_fmac_f16_e32 v74, 0x3a79, v61
	v_fmac_f16_e32 v78, 0x34f2, v77
	v_add_f16_e32 v76, v7, v57
	v_add_f16_e32 v79, v68, v59
	v_fma_f16 v38, v38, 0xbb9c, -v39
	v_fma_f16 v39, v73, 0xb8b4, -v69
	v_add_f16_e32 v61, v66, v55
	v_add_f16_e32 v69, v67, v74
	;; [unrolled: 1-line block ×3, first 2 shown]
	v_sub_f16_e32 v63, v63, v64
	v_add_f16_e32 v64, v28, v31
	v_sub_f16_e32 v7, v7, v57
	v_sub_f16_e32 v57, v68, v59
	v_add_f16_e32 v59, v0, v30
	v_sub_f16_e32 v55, v66, v55
	v_sub_f16_e32 v66, v67, v74
	;; [unrolled: 1-line block ×3, first 2 shown]
	v_add_f16_e32 v78, v30, v47
	v_add_f16_e32 v62, v65, v56
	;; [unrolled: 1-line block ×3, first 2 shown]
	v_sub_f16_e32 v56, v65, v56
	v_sub_f16_e32 v58, v70, v58
	v_fma_f16 v64, -0.5, v64, v0
	v_sub_f16_e32 v65, v25, v32
	v_add_f16_e32 v59, v59, v28
	v_sub_f16_e32 v70, v26, v27
	v_sub_f16_e32 v71, v30, v28
	;; [unrolled: 1-line block ×3, first 2 shown]
	v_fmac_f16_e32 v0, -0.5, v78
	v_add_f16_e32 v77, v29, v38
	v_add_f16_e32 v80, v72, v39
	v_fmamk_f16 v68, v65, 0x3b9c, v64
	v_sub_f16_e32 v81, v29, v38
	v_add_f16_e32 v29, v59, v31
	v_add_f16_e32 v38, v71, v74
	v_sub_f16_e32 v59, v72, v39
	v_fmac_f16_e32 v64, 0xbb9c, v65
	v_fmamk_f16 v39, v70, 0xbb9c, v0
	v_add_f16_e32 v74, v11, v25
	v_fmac_f16_e32 v0, 0x3b9c, v70
	v_fmac_f16_e32 v68, 0x38b4, v70
	v_sub_f16_e32 v71, v28, v30
	v_sub_f16_e32 v72, v31, v47
	v_fmac_f16_e32 v64, 0xb8b4, v70
	v_add_f16_e32 v78, v26, v27
	v_fmac_f16_e32 v39, 0x38b4, v65
	v_add_f16_e32 v70, v74, v26
	;; [unrolled: 2-line block ×4, first 2 shown]
	v_fma_f16 v72, -0.5, v78, v11
	v_sub_f16_e32 v30, v30, v47
	v_fmac_f16_e32 v64, 0x34f2, v38
	v_add_f16_e32 v38, v70, v27
	v_sub_f16_e32 v28, v28, v31
	v_sub_f16_e32 v31, v25, v26
	v_sub_f16_e32 v70, v32, v27
	v_fmac_f16_e32 v11, -0.5, v65
	v_sub_f16_e32 v25, v26, v25
	v_sub_f16_e32 v26, v27, v32
	v_add_f16_e32 v27, v12, v19
	v_add_f16_e32 v29, v29, v47
	v_fmamk_f16 v47, v30, 0xbb9c, v72
	v_fmac_f16_e32 v72, 0x3b9c, v30
	v_fmamk_f16 v65, v28, 0x3b9c, v11
	v_add_f16_e32 v25, v25, v26
	v_fmac_f16_e32 v11, 0xbb9c, v28
	v_add_f16_e32 v26, v27, v21
	v_add_f16_e32 v27, v21, v23
	v_fmac_f16_e32 v47, 0xb8b4, v28
	v_fmac_f16_e32 v72, 0x38b4, v28
	;; [unrolled: 1-line block ×4, first 2 shown]
	v_add_f16_e32 v26, v26, v23
	v_add_f16_e32 v28, v19, v24
	v_fma_f16 v27, -0.5, v27, v12
	v_sub_f16_e32 v30, v16, v22
	v_fmac_f16_e32 v65, 0x34f2, v25
	v_fmac_f16_e32 v11, 0x34f2, v25
	v_add_f16_e32 v25, v26, v24
	v_sub_f16_e32 v26, v17, v18
	v_fmac_f16_e32 v12, -0.5, v28
	v_add_f16_e32 v31, v31, v70
	v_fmamk_f16 v28, v30, 0x3b9c, v27
	v_fmac_f16_e32 v27, 0xbb9c, v30
	v_add_f16_e32 v38, v38, v32
	v_fmamk_f16 v70, v26, 0xbb9c, v12
	v_fmac_f16_e32 v12, 0x3b9c, v26
	v_fmac_f16_e32 v47, 0x34f2, v31
	;; [unrolled: 1-line block ×3, first 2 shown]
	v_sub_f16_e32 v31, v19, v21
	v_sub_f16_e32 v32, v24, v23
	v_fmac_f16_e32 v28, 0x38b4, v26
	v_fmac_f16_e32 v27, 0xb8b4, v26
	v_add_f16_e32 v26, v17, v18
	v_fmac_f16_e32 v39, 0x34f2, v71
	v_fmac_f16_e32 v0, 0x34f2, v71
	v_sub_f16_e32 v71, v21, v19
	v_sub_f16_e32 v74, v23, v24
	v_fmac_f16_e32 v70, 0x38b4, v30
	v_fmac_f16_e32 v12, 0xb8b4, v30
	v_add_f16_e32 v30, v16, v22
	v_add_f16_e32 v31, v31, v32
	v_fma_f16 v26, -0.5, v26, v15
	v_sub_f16_e32 v19, v19, v24
	v_add_f16_e32 v32, v71, v74
	v_add_f16_e32 v24, v15, v16
	v_sub_f16_e32 v21, v21, v23
	v_fmac_f16_e32 v15, -0.5, v30
	v_fmac_f16_e32 v28, 0x34f2, v31
	v_fmac_f16_e32 v27, 0x34f2, v31
	v_fmamk_f16 v23, v19, 0xbb9c, v26
	v_sub_f16_e32 v30, v16, v17
	v_sub_f16_e32 v31, v22, v18
	v_fmac_f16_e32 v70, 0x34f2, v32
	v_fmac_f16_e32 v12, 0x34f2, v32
	v_fmamk_f16 v32, v21, 0x3b9c, v15
	v_sub_f16_e32 v16, v17, v16
	v_sub_f16_e32 v71, v18, v22
	v_fmac_f16_e32 v23, 0xb8b4, v21
	v_add_f16_e32 v30, v30, v31
	v_fmac_f16_e32 v15, 0xbb9c, v21
	v_fmac_f16_e32 v26, 0x3b9c, v19
	;; [unrolled: 1-line block ×3, first 2 shown]
	v_add_f16_e32 v16, v16, v71
	v_fmac_f16_e32 v23, 0x34f2, v30
	v_fmac_f16_e32 v15, 0x38b4, v19
	;; [unrolled: 1-line block ×3, first 2 shown]
	v_add_f16_e32 v17, v24, v17
	v_fmac_f16_e32 v32, 0x34f2, v16
	v_mul_f16_e32 v19, 0x34f2, v12
	v_fmac_f16_e32 v15, 0x34f2, v16
	v_mul_f16_e32 v16, 0x38b4, v23
	;; [unrolled: 2-line block ×3, first 2 shown]
	v_add_f16_e32 v17, v17, v18
	v_mul_f16_e32 v18, 0x3b9c, v32
	v_fmac_f16_e32 v16, 0x3a79, v28
	v_fma_f16 v19, v15, 0x3b9c, -v19
	v_fma_f16 v21, v26, 0x38b4, -v21
	v_mul_f16_e32 v28, 0xb8b4, v28
	v_mul_f16_e32 v15, 0x34f2, v15
	;; [unrolled: 1-line block ×3, first 2 shown]
	v_fmac_f16_e32 v18, 0x34f2, v70
	v_add_f16_e32 v17, v17, v22
	v_mul_f16_e32 v70, 0xbb9c, v70
	v_fmac_f16_e32 v28, 0x3a79, v23
	v_fma_f16 v12, v12, 0xbb9c, -v15
	v_fma_f16 v15, v27, 0xb8b4, -v26
	v_add_f16_e32 v22, v29, v25
	v_add_f16_e32 v24, v68, v16
	v_add_f16_e32 v30, v39, v18
	v_add_f16_e32 v31, v0, v19
	v_sub_f16_e32 v23, v29, v25
	v_sub_f16_e32 v16, v68, v16
	;; [unrolled: 1-line block ×5, first 2 shown]
	v_add_f16_e32 v71, v64, v21
	v_fmac_f16_e32 v70, 0x34f2, v32
	v_add_f16_e32 v74, v38, v17
	v_add_f16_e32 v78, v47, v28
	;; [unrolled: 1-line block ×4, first 2 shown]
	v_sub_f16_e32 v64, v38, v17
	v_sub_f16_e32 v68, v47, v28
	;; [unrolled: 1-line block ×4, first 2 shown]
	global_wb scope:SCOPE_SE
	s_barrier_signal -1
	s_barrier_wait -1
	global_inv scope:SCOPE_SE
	ds_store_b16 v1, v33
	ds_store_b16 v1, v34 offset:60
	ds_store_b16 v1, v35 offset:120
	ds_store_b16 v1, v36 offset:180
	ds_store_b16 v1, v37 offset:240
	ds_store_b16 v1, v40 offset:300
	ds_store_b16 v1, v46 offset:360
	ds_store_b16 v1, v48 offset:420
	ds_store_b16 v1, v20 offset:480
	ds_store_b16 v1, v49 offset:540
	ds_store_b16 v2, v60
	ds_store_b16 v2, v62 offset:60
	ds_store_b16 v2, v75 offset:120
	ds_store_b16 v2, v76 offset:180
	ds_store_b16 v2, v79 offset:240
	ds_store_b16 v2, v63 offset:300
	ds_store_b16 v2, v56 offset:360
	ds_store_b16 v2, v58 offset:420
	ds_store_b16 v2, v7 offset:480
	ds_store_b16 v2, v57 offset:540
	;; [unrolled: 10-line block ×3, first 2 shown]
	global_wb scope:SCOPE_SE
	s_wait_dscnt 0x0
	s_barrier_signal -1
	s_barrier_wait -1
	global_inv scope:SCOPE_SE
	ds_load_u16 v15, v14
	ds_load_u16 v25, v14 offset:200
	ds_load_u16 v27, v14 offset:800
	;; [unrolled: 1-line block ×29, first 2 shown]
	v_add_f16_e32 v82, v65, v70
	v_sub_f16_e32 v65, v65, v70
	global_wb scope:SCOPE_SE
	s_wait_dscnt 0x0
	s_barrier_signal -1
	s_barrier_wait -1
	global_inv scope:SCOPE_SE
	ds_store_b16 v1, v41
	ds_store_b16 v1, v42 offset:60
	ds_store_b16 v1, v43 offset:120
	ds_store_b16 v1, v44 offset:180
	ds_store_b16 v1, v45 offset:240
	ds_store_b16 v1, v50 offset:300
	ds_store_b16 v1, v51 offset:360
	ds_store_b16 v1, v52 offset:420
	ds_store_b16 v1, v53 offset:480
	ds_store_b16 v1, v54 offset:540
	ds_store_b16 v2, v61
	ds_store_b16 v2, v69 offset:60
	ds_store_b16 v2, v73 offset:120
	ds_store_b16 v2, v77 offset:180
	ds_store_b16 v2, v80 offset:240
	ds_store_b16 v2, v55 offset:300
	ds_store_b16 v2, v66 offset:360
	ds_store_b16 v2, v67 offset:420
	ds_store_b16 v2, v81 offset:480
	ds_store_b16 v2, v59 offset:540
	ds_store_b16 v3, v74
	ds_store_b16 v3, v78 offset:60
	ds_store_b16 v3, v82 offset:120
	ds_store_b16 v3, v83 offset:180
	ds_store_b16 v3, v84 offset:240
	ds_store_b16 v3, v64 offset:300
	ds_store_b16 v3, v68 offset:360
	ds_store_b16 v3, v65 offset:420
	ds_store_b16 v3, v11 offset:480
	ds_store_b16 v3, v12 offset:540
	global_wb scope:SCOPE_SE
	s_wait_dscnt 0x0
	s_barrier_signal -1
	s_barrier_wait -1
	global_inv scope:SCOPE_SE
	s_and_saveexec_b32 s0, vcc_lo
	s_cbranch_execz .LBB0_13
; %bb.12:
	v_mul_u32_u24_e32 v0, 9, v13
	s_delay_alu instid0(VALU_DEP_1)
	v_dual_mov_b32 v12, 0 :: v_dual_lshlrev_b32 v11, 2, v0
	s_clause 0x2
	global_load_b128 v[0:3], v11, s[4:5] offset:1160
	global_load_b128 v[4:7], v11, s[4:5] offset:1176
	global_load_b32 v41, v11, s[4:5] offset:1192
	v_mad_u32_u24 v11, v13, 9, 0xfffffc7c
	v_mul_hi_u32 v13, 0x1b4e81b5, v13
	s_delay_alu instid0(VALU_DEP_2) | instskip(NEXT) | instid1(VALU_DEP_1)
	v_lshlrev_b64_e32 v[42:43], 2, v[11:12]
	v_add_co_u32 v54, vcc_lo, s4, v42
	s_wait_alu 0xfffd
	s_delay_alu instid0(VALU_DEP_2)
	v_add_co_ci_u32_e32 v55, vcc_lo, s5, v43, vcc_lo
	v_add_co_u32 v8, vcc_lo, s8, v8
	s_clause 0x2
	global_load_b128 v[42:45], v[54:55], off offset:1160
	global_load_b128 v[50:53], v[54:55], off offset:1176
	global_load_b32 v11, v[54:55], off offset:1192
	ds_load_u16 v54, v14 offset:1600
	ds_load_u16 v55, v14 offset:2800
	;; [unrolled: 1-line block ×24, first 2 shown]
	s_wait_alu 0xfffd
	v_add_co_ci_u32_e32 v9, vcc_lo, s9, v9, vcc_lo
	s_wait_loadcnt 0x5
	v_lshrrev_b32_e32 v79, 16, v1
	s_wait_dscnt 0x17
	v_mul_f16_e32 v82, v1, v54
	v_lshrrev_b32_e32 v81, 16, v3
	s_wait_dscnt 0x16
	v_mul_f16_e32 v83, v3, v55
	v_lshrrev_b32_e32 v80, 16, v2
	v_mul_f16_e32 v54, v79, v54
	v_fmac_f16_e32 v82, v40, v79
	s_wait_dscnt 0x5
	v_mul_f16_e32 v79, v2, v72
	v_fmac_f16_e32 v83, v39, v81
	v_mul_f16_e32 v55, v81, v55
	ds_load_u16 v81, v14 offset:5000
	s_wait_loadcnt 0x4
	v_lshrrev_b32_e32 v84, 16, v4
	v_lshrrev_b32_e32 v85, 16, v5
	;; [unrolled: 1-line block ×3, first 2 shown]
	v_mul_f16_e32 v72, v80, v72
	v_fmac_f16_e32 v79, v38, v80
	v_mul_f16_e32 v80, v4, v63
	v_lshrrev_b32_e32 v78, 16, v0
	v_mul_f16_e32 v88, v5, v60
	v_mul_f16_e32 v89, v7, v56
	;; [unrolled: 1-line block ×5, first 2 shown]
	v_fmac_f16_e32 v80, v47, v84
	v_mul_f16_e32 v84, v0, v67
	v_fmac_f16_e32 v88, v48, v85
	s_wait_loadcnt 0x3
	v_lshrrev_b32_e32 v85, 16, v41
	v_fmac_f16_e32 v89, v49, v87
	s_wait_dscnt 0x3
	v_mul_f16_e32 v87, v41, v75
	v_mul_f16_e32 v67, v78, v67
	v_fmac_f16_e32 v84, v36, v78
	ds_load_u16 v78, v14 offset:4800
	v_fma_f16 v5, v48, v5, -v60
	ds_load_u16 v48, v14 offset:600
	v_fma_f16 v7, v49, v7, -v56
	v_fma_f16 v47, v47, v4, -v63
	ds_load_u16 v49, v14 offset:400
	ds_load_u16 v56, v14 offset:200
	ds_load_u16 v4, v14
	v_lshrrev_b32_e32 v86, 16, v6
	v_mul_f16_e32 v75, v85, v75
	v_fmac_f16_e32 v87, v37, v85
	v_mul_f16_e32 v85, v6, v57
	v_fma_f16 v3, v39, v3, -v55
	s_wait_loadcnt 0x1
	v_lshrrev_b32_e32 v39, 16, v50
	v_fma_f16 v2, v38, v2, -v72
	v_lshrrev_b32_e32 v38, 16, v52
	v_fma_f16 v0, v36, v0, -v67
	v_lshrrev_b32_e32 v36, 16, v53
	v_mul_f16_e32 v57, v86, v57
	v_fmac_f16_e32 v85, v46, v86
	v_mul_u32_u24_e32 v86, 9, v10
	v_fma_f16 v1, v40, v1, -v54
	v_lshrrev_b32_e32 v40, 16, v51
	s_wait_dscnt 0x5
	v_mul_f16_e32 v54, v53, v81
	v_mul_f16_e32 v67, v50, v64
	;; [unrolled: 1-line block ×5, first 2 shown]
	v_lshlrev_b32_e32 v14, 2, v86
	v_fma_f16 v6, v46, v6, -v57
	v_lshrrev_b32_e32 v46, 16, v42
	v_lshrrev_b32_e32 v57, 16, v43
	v_lshrrev_b32_e32 v60, 16, v44
	v_mul_f16_e32 v86, v43, v65
	v_mul_f16_e32 v55, v51, v61
	;; [unrolled: 1-line block ×4, first 2 shown]
	v_fma_f16 v53, v34, v53, -v72
	v_fma_f16 v50, v32, v50, -v64
	;; [unrolled: 1-line block ×3, first 2 shown]
	s_wait_loadcnt 0x0
	v_lshrrev_b32_e32 v64, 16, v11
	v_mul_f16_e32 v72, v44, v73
	v_mul_f16_e32 v81, v11, v76
	v_fma_f16 v37, v37, v41, -v75
	v_mul_f16_e32 v41, v42, v68
	v_sub_f16_e32 v75, v82, v83
	v_fmac_f16_e32 v54, v34, v36
	v_sub_f16_e32 v34, v89, v88
	v_lshrrev_b32_e32 v63, 16, v45
	v_fma_f16 v51, v33, v51, -v61
	v_mul_f16_e32 v61, v45, v70
	v_fmac_f16_e32 v55, v33, v40
	v_sub_f16_e32 v33, v79, v87
	v_fmac_f16_e32 v67, v32, v39
	v_sub_f16_e32 v32, v79, v80
	v_fmac_f16_e32 v86, v29, v57
	v_mul_f16_e32 v57, v57, v65
	v_mul_f16_e32 v73, v60, v73
	v_fmac_f16_e32 v72, v28, v60
	v_sub_f16_e32 v60, v80, v79
	v_mul_f16_e32 v76, v64, v76
	v_fmac_f16_e32 v81, v31, v64
	v_sub_f16_e32 v64, v85, v87
	v_mul_f16_e32 v68, v46, v68
	v_fmac_f16_e32 v41, v27, v46
	v_add_f16_e32 v46, v79, v87
	v_add_f16_e32 v34, v75, v34
	s_wait_dscnt 0x2
	v_add_f16_e32 v75, v82, v49
	v_add_f16_e32 v79, v79, v84
	;; [unrolled: 1-line block ×3, first 2 shown]
	v_fmac_f16_e32 v58, v35, v38
	v_add_f16_e32 v35, v80, v85
	v_fmac_f16_e32 v61, v30, v63
	v_mul_f16_e32 v63, v63, v70
	v_add_f16_e32 v65, v82, v89
	v_fma_f16 v57, v29, v43, -v57
	v_add_f16_e32 v43, v47, v6
	v_add_f16_e32 v60, v60, v64
	;; [unrolled: 1-line block ×4, first 2 shown]
	v_sub_f16_e32 v40, v80, v85
	v_sub_f16_e32 v39, v87, v85
	;; [unrolled: 1-line block ×4, first 2 shown]
	v_fma_f16 v63, v30, v45, -v63
	v_sub_f16_e32 v30, v83, v88
	v_sub_f16_e32 v29, v3, v5
	v_fma_f16 v36, -0.5, v36, v49
	v_fma_f16 v68, v27, v42, -v68
	v_sub_f16_e32 v27, v2, v47
	v_sub_f16_e32 v42, v37, v6
	v_fma_f16 v35, -0.5, v35, v84
	v_fma_f16 v49, -0.5, v65, v49
	v_sub_f16_e32 v45, v47, v2
	v_sub_f16_e32 v65, v6, v37
	v_fma_f16 v46, -0.5, v46, v84
	v_add_f16_e32 v83, v3, v5
	v_sub_f16_e32 v84, v3, v1
	v_fma_f16 v11, v31, v11, -v76
	v_sub_f16_e32 v31, v5, v7
	v_add_f16_e32 v76, v1, v7
	v_fma_f16 v90, -0.5, v43, v0
	v_add_f16_e32 v43, v88, v64
	v_sub_f16_e32 v64, v72, v67
	v_add_f16_e32 v75, v85, v75
	v_sub_f16_e32 v85, v81, v58
	v_fma_f16 v73, v28, v44, -v73
	v_sub_f16_e32 v28, v1, v7
	v_sub_f16_e32 v44, v2, v37
	v_add_f16_e32 v38, v38, v70
	v_add_f16_e32 v70, v2, v37
	v_sub_f16_e32 v79, v1, v3
	v_sub_f16_e32 v80, v7, v5
	v_add_f16_e32 v1, v26, v1
	v_add_f16_e32 v2, v2, v0
	;; [unrolled: 1-line block ×3, first 2 shown]
	v_sub_f16_e32 v42, v86, v61
	v_add_f16_e32 v65, v45, v65
	v_sub_f16_e32 v45, v54, v55
	v_add_f16_e32 v31, v84, v31
	v_sub_f16_e32 v84, v61, v86
	v_fma_f16 v83, -0.5, v83, v26
	v_fma_f16 v76, -0.5, v76, v26
	v_sub_f16_e32 v26, v55, v54
	v_add_f16_e32 v64, v64, v85
	v_fmamk_f16 v85, v29, 0xbb9c, v49
	v_fmac_f16_e32 v49, 0x3b9c, v29
	v_add_f16_e32 v32, v32, v39
	v_sub_f16_e32 v39, v47, v6
	v_fma_f16 v70, -0.5, v70, v0
	v_add_f16_e32 v0, v61, v55
	v_add_f16_e32 v79, v79, v80
	;; [unrolled: 1-line block ×4, first 2 shown]
	v_sub_f16_e32 v3, v67, v72
	v_add_f16_e32 v2, v47, v2
	v_sub_f16_e32 v47, v58, v81
	v_add_f16_e32 v88, v42, v45
	v_add_f16_e32 v42, v72, v81
	;; [unrolled: 1-line block ×3, first 2 shown]
	v_fmamk_f16 v84, v28, 0x3b9c, v36
	v_fmac_f16_e32 v36, 0xbb9c, v28
	v_fmac_f16_e32 v85, 0x38b4, v28
	;; [unrolled: 1-line block ×3, first 2 shown]
	v_fmamk_f16 v28, v44, 0x3b9c, v35
	v_fmac_f16_e32 v35, 0xbb9c, v44
	v_add_f16_e32 v45, v72, v41
	v_add_f16_e32 v47, v3, v47
	v_fma_f16 v80, -0.5, v80, v41
	v_fma_f16 v91, -0.5, v42, v41
	v_fmamk_f16 v92, v39, 0xbb9c, v46
	v_fmac_f16_e32 v46, 0x3b9c, v39
	v_add_f16_e32 v3, v86, v54
	v_sub_f16_e32 v41, v82, v89
	s_wait_dscnt 0x1
	v_fma_f16 v82, -0.5, v0, v56
	v_fmac_f16_e32 v28, 0x38b4, v39
	v_fmac_f16_e32 v35, 0xb8b4, v39
	v_sub_f16_e32 v0, v73, v50
	v_add_f16_e32 v39, v89, v43
	v_sub_f16_e32 v43, v11, v52
	v_add_f16_e32 v42, v67, v45
	v_fma_f16 v93, -0.5, v3, v56
	v_add_f16_e32 v3, v86, v56
	v_sub_f16_e32 v45, v50, v73
	v_add_f16_e32 v1, v1, v5
	v_sub_f16_e32 v5, v52, v11
	;; [unrolled: 2-line block ×4, first 2 shown]
	v_fmac_f16_e32 v92, 0x38b4, v44
	v_fmac_f16_e32 v46, 0xb8b4, v44
	v_sub_f16_e32 v67, v67, v58
	v_fmac_f16_e32 v84, 0x38b4, v29
	v_fmac_f16_e32 v36, 0xb8b4, v29
	v_sub_f16_e32 v29, v63, v51
	v_add_f16_e32 v5, v45, v5
	v_add_f16_e32 v42, v58, v42
	v_sub_f16_e32 v45, v50, v52
	v_add_f16_e32 v58, v6, v0
	v_sub_f16_e32 v6, v73, v11
	v_add_f16_e32 v44, v87, v75
	v_fmac_f16_e32 v92, 0x34f2, v60
	v_fmac_f16_e32 v46, 0x34f2, v60
	v_fmamk_f16 v60, v33, 0xbb9c, v90
	v_fmac_f16_e32 v90, 0x3b9c, v33
	v_fmamk_f16 v89, v30, 0x3b9c, v76
	v_fmac_f16_e32 v76, 0xbb9c, v30
	v_sub_f16_e32 v43, v57, v53
	v_fmamk_f16 v95, v6, 0x3b9c, v80
	v_fmamk_f16 v96, v29, 0xbb9c, v93
	;; [unrolled: 1-line block ×3, first 2 shown]
	v_fmac_f16_e32 v93, 0x3b9c, v29
	v_fmac_f16_e32 v91, 0x3b9c, v45
	v_fmac_f16_e32 v80, 0xbb9c, v6
	v_fmac_f16_e32 v85, 0x34f2, v38
	v_fmac_f16_e32 v49, 0x34f2, v38
	v_fmamk_f16 v75, v40, 0x3b9c, v70
	v_fmac_f16_e32 v70, 0xbb9c, v40
	v_fmamk_f16 v87, v41, 0xbb9c, v83
	v_fmac_f16_e32 v83, 0x3b9c, v41
	v_fmac_f16_e32 v60, 0xb8b4, v40
	;; [unrolled: 1-line block ×5, first 2 shown]
	v_add_f16_e32 v7, v7, v1
	v_sub_f16_e32 v0, v39, v44
	v_add_f16_e32 v1, v39, v44
	global_load_b128 v[38:41], v14, s[4:5] offset:1160
	v_fmamk_f16 v94, v43, 0x3b9c, v82
	v_fmac_f16_e32 v82, 0xbb9c, v43
	v_fmac_f16_e32 v96, 0x38b4, v43
	v_fmac_f16_e32 v97, 0x38b4, v6
	v_fmac_f16_e32 v93, 0xb8b4, v43
	v_fmac_f16_e32 v91, 0xb8b4, v6
	v_sub_f16_e32 v6, v72, v81
	v_sub_f16_e32 v72, v86, v54
	v_fmac_f16_e32 v95, 0x38b4, v45
	v_fmac_f16_e32 v80, 0xb8b4, v45
	v_add_f16_e32 v81, v81, v42
	s_clause 0x1
	global_load_b128 v[42:45], v14, s[4:5] offset:1176
	global_load_b32 v86, v14, s[4:5] offset:1192
	v_fmac_f16_e32 v87, 0xb8b4, v30
	v_fmac_f16_e32 v83, 0x38b4, v30
	v_add_f16_e32 v30, v37, v2
	v_add_f16_e32 v2, v61, v3
	v_fmac_f16_e32 v70, 0x38b4, v33
	v_fmac_f16_e32 v94, 0x38b4, v29
	;; [unrolled: 1-line block ×4, first 2 shown]
	v_add_f16_e32 v2, v55, v2
	v_fmac_f16_e32 v70, 0x34f2, v65
	v_add_f16_e32 v3, v73, v11
	v_fmac_f16_e32 v95, 0x34f2, v64
	v_fmac_f16_e32 v28, 0x34f2, v32
	v_add_f16_e32 v54, v54, v2
	v_add_f16_e32 v2, v50, v52
	v_mul_f16_e32 v33, 0xbb9c, v70
	v_fmac_f16_e32 v35, 0x34f2, v32
	v_fma_f16 v99, -0.5, v3, v68
	v_mul_f16_e32 v32, 0x3a79, v95
	v_fma_f16 v98, -0.5, v2, v68
	v_fmac_f16_e32 v33, 0x34f2, v46
	v_fmac_f16_e32 v87, 0x34f2, v79
	;; [unrolled: 1-line block ×3, first 2 shown]
	v_sub_f16_e32 v2, v7, v30
	v_fmamk_f16 v29, v6, 0xbb9c, v98
	v_fmac_f16_e32 v98, 0x3b9c, v6
	v_add_f16_e32 v3, v7, v30
	v_fmamk_f16 v79, v67, 0x3b9c, v99
	v_fmac_f16_e32 v99, 0xbb9c, v67
	v_fmac_f16_e32 v29, 0xb8b4, v67
	v_fmac_f16_e32 v98, 0x38b4, v67
	v_mul_f16_e32 v30, 0x3b9c, v46
	v_fmac_f16_e32 v75, 0x34f2, v65
	v_fmac_f16_e32 v60, 0x34f2, v27
	;; [unrolled: 1-line block ×4, first 2 shown]
	v_add_f16_e32 v65, v63, v51
	v_fmac_f16_e32 v97, 0x34f2, v47
	v_fmac_f16_e32 v79, 0xb8b4, v6
	v_fma_f16 v56, v29, 0xb8b4, -v32
	v_mul_f16_e32 v67, 0x3a79, v29
	v_sub_f16_e32 v29, v49, v33
	v_add_f16_e32 v33, v49, v33
	v_add_f16_e32 v49, v57, v53
	v_fmac_f16_e32 v99, 0x38b4, v6
	v_mul_f16_e32 v6, 0x34f2, v92
	v_fmac_f16_e32 v30, 0x34f2, v70
	v_sub_f16_e32 v55, v61, v55
	v_fma_f16 v61, v95, 0x38b4, -v67
	v_sub_f16_e32 v67, v63, v57
	v_sub_f16_e32 v70, v51, v53
	v_fma_f16 v49, -0.5, v49, v25
	v_fmac_f16_e32 v90, 0x34f2, v27
	v_fmac_f16_e32 v76, 0x34f2, v31
	v_mul_f16_e32 v7, 0x3a79, v28
	v_fma_f16 v27, v75, 0xbb9c, -v6
	v_mul_f16_e32 v6, 0x3a79, v60
	v_fmac_f16_e32 v79, 0x34f2, v5
	v_mul_f16_e32 v37, 0x34f2, v97
	v_fma_f16 v65, -0.5, v65, v25
	v_add_f16_e32 v67, v67, v70
	v_fmamk_f16 v70, v55, 0x3b9c, v49
	v_fmac_f16_e32 v96, 0x34f2, v26
	v_fmac_f16_e32 v93, 0x34f2, v26
	v_fma_f16 v26, v60, 0xb8b4, -v7
	v_fma_f16 v46, v28, 0x38b4, -v6
	v_sub_f16_e32 v6, v76, v30
	v_add_f16_e32 v28, v76, v30
	v_fma_f16 v60, v79, 0xbb9c, -v37
	v_mul_f16_e32 v76, 0x34f2, v79
	v_fmamk_f16 v79, v72, 0xbb9c, v65
	v_fmac_f16_e32 v70, 0xb8b4, v72
	v_add_f16_e32 v25, v25, v57
	v_add_f16_e32 v68, v73, v68
	v_fmac_f16_e32 v89, 0x34f2, v31
	v_fmac_f16_e32 v91, 0x34f2, v47
	;; [unrolled: 1-line block ×3, first 2 shown]
	v_mul_f16_e32 v31, 0x38b4, v35
	v_mul_f16_e32 v7, 0x34f2, v75
	;; [unrolled: 1-line block ×3, first 2 shown]
	v_fmac_f16_e32 v49, 0xbb9c, v55
	v_fma_f16 v76, v97, 0x3b9c, -v76
	v_fmac_f16_e32 v65, 0x3b9c, v72
	v_fmac_f16_e32 v79, 0xb8b4, v55
	;; [unrolled: 1-line block ×3, first 2 shown]
	v_add_f16_e32 v25, v25, v63
	v_add_f16_e32 v50, v50, v68
	v_fmac_f16_e32 v82, 0x34f2, v88
	v_fmac_f16_e32 v31, 0x3a79, v90
	;; [unrolled: 1-line block ×6, first 2 shown]
	v_mul_f16_e32 v63, 0x3b9c, v91
	v_fmac_f16_e32 v65, 0x38b4, v55
	v_mul_f16_e32 v55, 0x38b4, v80
	v_add_f16_e32 v25, v25, v51
	v_add_f16_e32 v50, v52, v50
	v_sub_f16_e32 v51, v70, v76
	v_add_f16_e32 v70, v70, v76
	v_fmac_f16_e32 v84, 0x34f2, v34
	v_sub_f16_e32 v5, v85, v27
	v_fma_f16 v47, v92, 0x3b9c, -v7
	v_sub_f16_e32 v7, v83, v31
	v_add_f16_e32 v27, v85, v27
	v_add_f16_e32 v30, v83, v31
	v_sub_f16_e32 v57, v82, v75
	v_fmac_f16_e32 v49, 0x34f2, v67
	v_fmac_f16_e32 v63, 0x34f2, v99
	v_add_f16_e32 v11, v11, v50
	v_sub_f16_e32 v50, v79, v61
	v_add_f16_e32 v67, v82, v75
	v_add_f16_e32 v61, v79, v61
	v_sub_f16_e32 v14, v84, v26
	v_add_f16_e32 v26, v84, v26
	v_sub_f16_e32 v52, v49, v63
	;; [unrolled: 2-line block ×3, first 2 shown]
	v_add_f16_e32 v25, v53, v25
	v_add_f16_e32 v54, v54, v81
	v_fmac_f16_e32 v65, 0x34f2, v58
	v_fmac_f16_e32 v55, 0x3a79, v98
	;; [unrolled: 1-line block ×3, first 2 shown]
	v_sub_f16_e32 v58, v25, v11
	v_add_f16_e32 v25, v25, v11
	v_mul_f16_e32 v34, 0xb8b4, v90
	v_sub_f16_e32 v53, v65, v55
	v_add_f16_e32 v55, v65, v55
	v_fmac_f16_e32 v94, 0x34f2, v88
	v_sub_f16_e32 v37, v87, v46
	v_fmac_f16_e32 v34, 0x3a79, v35
	v_sub_f16_e32 v32, v89, v47
	v_mul_f16_e32 v64, 0xbb9c, v99
	v_pack_b32_f16 v1, v3, v1
	v_pack_b32_f16 v0, v2, v0
	v_sub_f16_e32 v31, v36, v34
	v_add_f16_e32 v35, v36, v34
	v_add_f16_e32 v34, v87, v46
	;; [unrolled: 1-line block ×3, first 2 shown]
	v_fmac_f16_e32 v64, 0x34f2, v91
	v_sub_f16_e32 v47, v96, v60
	v_add_f16_e32 v60, v96, v60
	v_sub_f16_e32 v46, v94, v56
	v_add_f16_e32 v56, v94, v56
	;; [unrolled: 2-line block ×3, first 2 shown]
	v_pack_b32_f16 v3, v30, v35
	v_pack_b32_f16 v2, v7, v31
	;; [unrolled: 1-line block ×4, first 2 shown]
	s_wait_loadcnt 0x2
	v_lshrrev_b32_e32 v68, 16, v39
	v_mul_f16_e32 v80, v39, v66
	v_lshrrev_b32_e32 v63, 16, v40
	v_lshrrev_b32_e32 v75, 16, v41
	v_mul_f16_e32 v81, v41, v71
	v_mul_f16_e32 v66, v68, v66
	v_fmac_f16_e32 v80, v22, v68
	v_lshrrev_b32_e32 v11, 16, v38
	v_mul_f16_e32 v71, v75, v71
	v_fmac_f16_e32 v81, v23, v75
	v_fma_f16 v22, v22, v39, -v66
	s_wait_loadcnt 0x1
	v_lshrrev_b32_e32 v76, 16, v45
	v_mul_f16_e32 v79, v45, v78
	v_lshrrev_b32_e32 v82, 16, v42
	v_lshrrev_b32_e32 v83, 16, v43
	;; [unrolled: 1-line block ×3, first 2 shown]
	v_mul_f16_e32 v68, v76, v78
	v_mul_f16_e32 v84, v43, v62
	v_fmac_f16_e32 v79, v21, v76
	v_mul_f16_e32 v62, v83, v62
	v_mul_f16_e32 v76, v85, v59
	v_fma_f16 v21, v21, v45, -v68
	v_mul_f16_e32 v68, v82, v69
	v_fmac_f16_e32 v84, v24, v83
	v_fma_f16 v24, v24, v43, -v62
	v_mul_f16_e32 v62, v63, v74
	s_wait_loadcnt 0x0
	v_lshrrev_b32_e32 v43, 16, v86
	v_fma_f16 v68, v20, v42, -v68
	v_mul_f16_e32 v42, v42, v69
	v_fma_f16 v69, v18, v44, -v76
	v_mul_f16_e32 v44, v44, v59
	;; [unrolled: 2-line block ×3, first 2 shown]
	v_fmac_f16_e32 v42, v20, v82
	v_sub_f16_e32 v65, v80, v81
	v_fmac_f16_e32 v44, v18, v85
	v_mul_f16_e32 v18, v86, v77
	v_fmac_f16_e32 v40, v17, v63
	v_sub_f16_e32 v45, v79, v84
	v_mul_f16_e32 v75, v43, v77
	v_mul_f16_e32 v78, v11, v48
	v_fmac_f16_e32 v18, v19, v43
	v_mul_f16_e32 v20, v38, v48
	v_sub_f16_e32 v43, v40, v42
	v_fma_f16 v75, v19, v86, -v75
	v_add_f16_e32 v45, v65, v45
	v_sub_f16_e32 v48, v18, v44
	v_sub_f16_e32 v65, v84, v79
	v_fmac_f16_e32 v20, v16, v11
	v_add_f16_e32 v11, v42, v44
	v_fma_f16 v59, v16, v38, -v78
	v_add_f16_e32 v43, v43, v48
	v_sub_f16_e32 v48, v81, v80
	v_add_f16_e32 v38, v68, v69
	v_sub_f16_e32 v16, v62, v68
	v_sub_f16_e32 v76, v75, v69
	;; [unrolled: 1-line block ×3, first 2 shown]
	v_add_f16_e32 v48, v48, v65
	v_add_f16_e32 v65, v40, v18
	v_fma_f16 v11, -0.5, v11, v20
	v_add_f16_e32 v39, v81, v84
	v_fma_f16 v17, -0.5, v38, v59
	v_sub_f16_e32 v38, v40, v18
	v_sub_f16_e32 v63, v68, v69
	v_add_f16_e32 v16, v16, v76
	v_add_f16_e32 v76, v80, v79
	v_sub_f16_e32 v83, v68, v62
	v_sub_f16_e32 v86, v69, v75
	v_fma_f16 v65, -0.5, v65, v20
	v_fmamk_f16 v74, v19, 0x3b9c, v11
	v_fmac_f16_e32 v11, 0xbb9c, v19
	v_fma_f16 v23, v23, v41, -v71
	v_sub_f16_e32 v41, v22, v21
	s_wait_dscnt 0x0
	v_fma_f16 v39, -0.5, v39, v4
	v_fmamk_f16 v77, v38, 0xbb9c, v17
	v_sub_f16_e32 v78, v42, v44
	v_fma_f16 v76, -0.5, v76, v4
	v_add_f16_e32 v83, v83, v86
	v_fmamk_f16 v86, v63, 0xbb9c, v65
	v_fmac_f16_e32 v65, 0x3b9c, v63
	v_fmac_f16_e32 v17, 0x3b9c, v38
	v_add_f16_e32 v4, v80, v4
	v_fmac_f16_e32 v74, 0x38b4, v63
	v_fmac_f16_e32 v11, 0xb8b4, v63
	v_sub_f16_e32 v66, v23, v24
	v_fmamk_f16 v71, v41, 0x3b9c, v39
	v_fmac_f16_e32 v77, 0xb8b4, v78
	v_fmac_f16_e32 v86, 0x38b4, v19
	v_fmac_f16_e32 v65, 0xb8b4, v19
	v_fmac_f16_e32 v17, 0x38b4, v78
	v_add_f16_e32 v19, v40, v20
	v_fmac_f16_e32 v39, 0xbb9c, v41
	v_add_f16_e32 v4, v81, v4
	v_fmac_f16_e32 v74, 0x34f2, v43
	v_fmac_f16_e32 v11, 0x34f2, v43
	v_add_f16_e32 v20, v23, v24
	v_add_f16_e32 v43, v22, v21
	v_fmac_f16_e32 v71, 0x38b4, v66
	v_fmac_f16_e32 v77, 0x34f2, v16
	v_add_f16_e32 v85, v62, v75
	v_fmac_f16_e32 v17, 0x34f2, v16
	v_add_f16_e32 v16, v42, v19
	;; [unrolled: 2-line block ×3, first 2 shown]
	v_fma_f16 v20, -0.5, v20, v15
	v_sub_f16_e32 v63, v81, v84
	v_fma_f16 v43, -0.5, v43, v15
	v_add_f16_e32 v15, v15, v22
	v_fmac_f16_e32 v71, 0x34f2, v45
	v_sub_f16_e32 v87, v42, v40
	v_sub_f16_e32 v88, v44, v18
	v_fma_f16 v85, -0.5, v85, v59
	v_add_f16_e32 v16, v44, v16
	v_fmac_f16_e32 v39, 0x34f2, v45
	v_add_f16_e32 v4, v79, v4
	v_sub_f16_e32 v44, v80, v79
	v_sub_f16_e32 v45, v22, v23
	;; [unrolled: 1-line block ×3, first 2 shown]
	v_add_f16_e32 v22, v62, v59
	v_mul_f16_e32 v19, 0xb8b4, v17
	v_fmamk_f16 v81, v63, 0x3b9c, v43
	v_fmac_f16_e32 v43, 0xbb9c, v63
	v_add_f16_e32 v15, v15, v23
	v_add_f16_e32 v87, v87, v88
	v_fmamk_f16 v88, v78, 0x3b9c, v85
	v_add_f16_e32 v22, v68, v22
	v_fmac_f16_e32 v85, 0xbb9c, v78
	v_fmac_f16_e32 v19, 0x3a79, v11
	v_fmamk_f16 v78, v44, 0xbb9c, v20
	v_fmac_f16_e32 v81, 0xb8b4, v44
	v_fmac_f16_e32 v43, 0x38b4, v44
	;; [unrolled: 1-line block ×3, first 2 shown]
	v_mul_f16_e32 v44, 0x38b4, v11
	v_add_f16_e32 v11, v15, v24
	v_fmamk_f16 v89, v66, 0xbb9c, v76
	v_fmac_f16_e32 v88, 0xb8b4, v38
	v_fmac_f16_e32 v76, 0x3b9c, v66
	v_sub_f16_e32 v66, v21, v24
	v_add_f16_e32 v15, v69, v22
	v_fmac_f16_e32 v44, 0x3a79, v17
	v_add_f16_e32 v17, v21, v11
	v_mov_b32_e32 v11, v12
	v_fmac_f16_e32 v85, 0x38b4, v38
	v_mul_f16_e32 v82, 0x3a79, v74
	v_fmac_f16_e32 v86, 0x34f2, v87
	v_fmac_f16_e32 v88, 0x34f2, v83
	v_add_f16_e32 v16, v18, v16
	v_sub_f16_e32 v80, v24, v21
	v_add_f16_e32 v45, v45, v66
	v_fmac_f16_e32 v78, 0xb8b4, v63
	v_mul_f16_e32 v66, 0x3a79, v77
	v_add_f16_e32 v15, v75, v15
	v_lshlrev_b64_e32 v[10:11], 2, v[10:11]
	v_fmac_f16_e32 v89, 0x38b4, v41
	v_fmac_f16_e32 v85, 0x34f2, v83
	;; [unrolled: 1-line block ×4, first 2 shown]
	v_fma_f16 v82, v77, 0xb8b4, -v82
	v_mul_f16_e32 v83, 0x34f2, v86
	v_sub_f16_e32 v42, v4, v16
	v_add_f16_e32 v77, v79, v80
	v_fmac_f16_e32 v78, 0x34f2, v45
	v_fma_f16 v66, v74, 0x38b4, -v66
	v_mul_f16_e32 v74, 0x34f2, v88
	v_sub_f16_e32 v62, v17, v15
	v_add_f16_e32 v4, v4, v16
	v_add_f16_e32 v15, v17, v15
	v_fmac_f16_e32 v20, 0x38b4, v63
	v_add_co_u32 v8, vcc_lo, v8, v10
	v_fmac_f16_e32 v89, 0x34f2, v48
	v_fmac_f16_e32 v76, 0x34f2, v48
	v_mul_f16_e32 v48, 0xbb9c, v85
	v_mul_f16_e32 v23, 0x3b9c, v65
	v_fma_f16 v83, v88, 0xbb9c, -v83
	v_fmac_f16_e32 v81, 0x34f2, v77
	v_fma_f16 v59, v86, 0x3b9c, -v74
	v_add_f16_e32 v63, v71, v82
	v_add_f16_e32 v16, v78, v66
	s_wait_alu 0xfffd
	v_add_co_ci_u32_e32 v9, vcc_lo, v9, v11, vcc_lo
	v_pack_b32_f16 v4, v15, v4
	v_fmac_f16_e32 v20, 0x34f2, v45
	v_fmac_f16_e32 v48, 0x34f2, v65
	;; [unrolled: 1-line block ×4, first 2 shown]
	v_sub_f16_e32 v18, v89, v83
	v_sub_f16_e32 v22, v81, v59
	global_store_b32 v[8:9], v4, off
	v_pack_b32_f16 v4, v16, v63
	v_sub_f16_e32 v41, v39, v19
	v_add_f16_e32 v19, v39, v19
	v_add_f16_e32 v11, v20, v44
	v_sub_f16_e32 v40, v76, v48
	v_add_f16_e32 v48, v76, v48
	v_add_f16_e32 v15, v43, v23
	v_sub_f16_e32 v38, v71, v82
	v_sub_f16_e32 v21, v78, v66
	global_store_b32 v[8:9], v4, off offset:4800
	v_pack_b32_f16 v4, v22, v18
	v_add_f16_e32 v65, v89, v83
	v_add_f16_e32 v10, v81, v59
	v_pack_b32_f16 v11, v11, v19
	v_pack_b32_f16 v17, v25, v54
	;; [unrolled: 1-line block ×3, first 2 shown]
	global_store_b32 v[8:9], v4, off offset:9600
	v_pack_b32_f16 v4, v21, v38
	v_pack_b32_f16 v21, v55, v67
	v_sub_f16_e32 v24, v43, v23
	v_pack_b32_f16 v23, v49, v64
	v_pack_b32_f16 v10, v10, v65
	s_clause 0x1
	global_store_b32 v[8:9], v11, off offset:1200
	global_store_b32 v[8:9], v17, off offset:400
	v_pack_b32_f16 v11, v70, v60
	s_clause 0x4
	global_store_b32 v[8:9], v15, off offset:2400
	global_store_b32 v[8:9], v21, off offset:1600
	;; [unrolled: 1-line block ×5, first 2 shown]
	v_lshrrev_b32_e32 v10, 5, v13
	v_sub_f16_e32 v45, v20, v44
	v_pack_b32_f16 v18, v62, v42
	v_pack_b32_f16 v16, v61, v56
	;; [unrolled: 1-line block ×3, first 2 shown]
	v_mul_u32_u24_e32 v11, 0xa8c, v10
	v_pack_b32_f16 v19, v45, v41
	v_pack_b32_f16 v13, v58, v73
	s_clause 0x1
	global_store_b32 v[8:9], v18, off offset:6000
	global_store_b32 v[8:9], v16, off offset:5200
	v_pack_b32_f16 v16, v52, v72
	v_lshlrev_b64_e32 v[10:11], 2, v[11:12]
	v_pack_b32_f16 v12, v50, v46
	v_pack_b32_f16 v22, v51, v47
	;; [unrolled: 1-line block ×3, first 2 shown]
	s_clause 0x2
	global_store_b32 v[8:9], v19, off offset:7200
	global_store_b32 v[8:9], v13, off offset:6400
	;; [unrolled: 1-line block ×3, first 2 shown]
	v_add_co_u32 v10, vcc_lo, v8, v10
	s_wait_alu 0xfffd
	v_add_co_ci_u32_e32 v11, vcc_lo, v9, v11, vcc_lo
	s_clause 0x4
	global_store_b32 v[8:9], v20, off offset:8400
	global_store_b32 v[8:9], v16, off offset:8800
	;; [unrolled: 1-line block ×5, first 2 shown]
	v_pack_b32_f16 v4, v28, v33
	v_pack_b32_f16 v8, v36, v27
	;; [unrolled: 1-line block ×4, first 2 shown]
	s_clause 0x9
	global_store_b32 v[10:11], v1, off offset:800
	global_store_b32 v[10:11], v3, off offset:2000
	;; [unrolled: 1-line block ×10, first 2 shown]
.LBB0_13:
	s_nop 0
	s_sendmsg sendmsg(MSG_DEALLOC_VGPRS)
	s_endpgm
	.section	.rodata,"a",@progbits
	.p2align	6, 0x0
	.amdhsa_kernel fft_rtc_fwd_len3000_factors_10_3_10_10_wgs_100_tpt_100_halfLds_half_ip_CI_unitstride_sbrr_dirReg
		.amdhsa_group_segment_fixed_size 0
		.amdhsa_private_segment_fixed_size 0
		.amdhsa_kernarg_size 88
		.amdhsa_user_sgpr_count 2
		.amdhsa_user_sgpr_dispatch_ptr 0
		.amdhsa_user_sgpr_queue_ptr 0
		.amdhsa_user_sgpr_kernarg_segment_ptr 1
		.amdhsa_user_sgpr_dispatch_id 0
		.amdhsa_user_sgpr_private_segment_size 0
		.amdhsa_wavefront_size32 1
		.amdhsa_uses_dynamic_stack 0
		.amdhsa_enable_private_segment 0
		.amdhsa_system_sgpr_workgroup_id_x 1
		.amdhsa_system_sgpr_workgroup_id_y 0
		.amdhsa_system_sgpr_workgroup_id_z 0
		.amdhsa_system_sgpr_workgroup_info 0
		.amdhsa_system_vgpr_workitem_id 0
		.amdhsa_next_free_vgpr 107
		.amdhsa_next_free_sgpr 32
		.amdhsa_reserve_vcc 1
		.amdhsa_float_round_mode_32 0
		.amdhsa_float_round_mode_16_64 0
		.amdhsa_float_denorm_mode_32 3
		.amdhsa_float_denorm_mode_16_64 3
		.amdhsa_fp16_overflow 0
		.amdhsa_workgroup_processor_mode 1
		.amdhsa_memory_ordered 1
		.amdhsa_forward_progress 0
		.amdhsa_round_robin_scheduling 0
		.amdhsa_exception_fp_ieee_invalid_op 0
		.amdhsa_exception_fp_denorm_src 0
		.amdhsa_exception_fp_ieee_div_zero 0
		.amdhsa_exception_fp_ieee_overflow 0
		.amdhsa_exception_fp_ieee_underflow 0
		.amdhsa_exception_fp_ieee_inexact 0
		.amdhsa_exception_int_div_zero 0
	.end_amdhsa_kernel
	.text
.Lfunc_end0:
	.size	fft_rtc_fwd_len3000_factors_10_3_10_10_wgs_100_tpt_100_halfLds_half_ip_CI_unitstride_sbrr_dirReg, .Lfunc_end0-fft_rtc_fwd_len3000_factors_10_3_10_10_wgs_100_tpt_100_halfLds_half_ip_CI_unitstride_sbrr_dirReg
                                        ; -- End function
	.section	.AMDGPU.csdata,"",@progbits
; Kernel info:
; codeLenInByte = 18140
; NumSgprs: 34
; NumVgprs: 107
; ScratchSize: 0
; MemoryBound: 0
; FloatMode: 240
; IeeeMode: 1
; LDSByteSize: 0 bytes/workgroup (compile time only)
; SGPRBlocks: 4
; VGPRBlocks: 13
; NumSGPRsForWavesPerEU: 34
; NumVGPRsForWavesPerEU: 107
; Occupancy: 12
; WaveLimiterHint : 1
; COMPUTE_PGM_RSRC2:SCRATCH_EN: 0
; COMPUTE_PGM_RSRC2:USER_SGPR: 2
; COMPUTE_PGM_RSRC2:TRAP_HANDLER: 0
; COMPUTE_PGM_RSRC2:TGID_X_EN: 1
; COMPUTE_PGM_RSRC2:TGID_Y_EN: 0
; COMPUTE_PGM_RSRC2:TGID_Z_EN: 0
; COMPUTE_PGM_RSRC2:TIDIG_COMP_CNT: 0
	.text
	.p2alignl 7, 3214868480
	.fill 96, 4, 3214868480
	.type	__hip_cuid_93d06d332af0764e,@object ; @__hip_cuid_93d06d332af0764e
	.section	.bss,"aw",@nobits
	.globl	__hip_cuid_93d06d332af0764e
__hip_cuid_93d06d332af0764e:
	.byte	0                               ; 0x0
	.size	__hip_cuid_93d06d332af0764e, 1

	.ident	"AMD clang version 19.0.0git (https://github.com/RadeonOpenCompute/llvm-project roc-6.4.0 25133 c7fe45cf4b819c5991fe208aaa96edf142730f1d)"
	.section	".note.GNU-stack","",@progbits
	.addrsig
	.addrsig_sym __hip_cuid_93d06d332af0764e
	.amdgpu_metadata
---
amdhsa.kernels:
  - .args:
      - .actual_access:  read_only
        .address_space:  global
        .offset:         0
        .size:           8
        .value_kind:     global_buffer
      - .offset:         8
        .size:           8
        .value_kind:     by_value
      - .actual_access:  read_only
        .address_space:  global
        .offset:         16
        .size:           8
        .value_kind:     global_buffer
      - .actual_access:  read_only
        .address_space:  global
        .offset:         24
        .size:           8
        .value_kind:     global_buffer
      - .offset:         32
        .size:           8
        .value_kind:     by_value
      - .actual_access:  read_only
        .address_space:  global
        .offset:         40
        .size:           8
        .value_kind:     global_buffer
      - .actual_access:  read_only
        .address_space:  global
        .offset:         48
        .size:           8
        .value_kind:     global_buffer
      - .offset:         56
        .size:           4
        .value_kind:     by_value
      - .actual_access:  read_only
        .address_space:  global
        .offset:         64
        .size:           8
        .value_kind:     global_buffer
      - .actual_access:  read_only
        .address_space:  global
        .offset:         72
        .size:           8
        .value_kind:     global_buffer
      - .address_space:  global
        .offset:         80
        .size:           8
        .value_kind:     global_buffer
    .group_segment_fixed_size: 0
    .kernarg_segment_align: 8
    .kernarg_segment_size: 88
    .language:       OpenCL C
    .language_version:
      - 2
      - 0
    .max_flat_workgroup_size: 100
    .name:           fft_rtc_fwd_len3000_factors_10_3_10_10_wgs_100_tpt_100_halfLds_half_ip_CI_unitstride_sbrr_dirReg
    .private_segment_fixed_size: 0
    .sgpr_count:     34
    .sgpr_spill_count: 0
    .symbol:         fft_rtc_fwd_len3000_factors_10_3_10_10_wgs_100_tpt_100_halfLds_half_ip_CI_unitstride_sbrr_dirReg.kd
    .uniform_work_group_size: 1
    .uses_dynamic_stack: false
    .vgpr_count:     107
    .vgpr_spill_count: 0
    .wavefront_size: 32
    .workgroup_processor_mode: 1
amdhsa.target:   amdgcn-amd-amdhsa--gfx1201
amdhsa.version:
  - 1
  - 2
...

	.end_amdgpu_metadata
